;; amdgpu-corpus repo=ROCm/rocFFT kind=compiled arch=gfx1201 opt=O3
	.text
	.amdgcn_target "amdgcn-amd-amdhsa--gfx1201"
	.amdhsa_code_object_version 6
	.protected	bluestein_single_back_len765_dim1_dp_op_CI_CI ; -- Begin function bluestein_single_back_len765_dim1_dp_op_CI_CI
	.globl	bluestein_single_back_len765_dim1_dp_op_CI_CI
	.p2align	8
	.type	bluestein_single_back_len765_dim1_dp_op_CI_CI,@function
bluestein_single_back_len765_dim1_dp_op_CI_CI: ; @bluestein_single_back_len765_dim1_dp_op_CI_CI
; %bb.0:
	s_load_b128 s[8:11], s[0:1], 0x28
	v_mul_u32_u24_e32 v1, 0x506, v0
	s_mov_b32 s2, exec_lo
	s_delay_alu instid0(VALU_DEP_1) | instskip(NEXT) | instid1(VALU_DEP_1)
	v_lshrrev_b32_e32 v1, 16, v1
	v_mad_co_u64_u32 v[221:222], null, ttmp9, 5, v[1:2]
	v_mov_b32_e32 v222, 0
                                        ; kill: def $vgpr2 killed $sgpr0 killed $exec
	s_wait_kmcnt 0x0
	s_delay_alu instid0(VALU_DEP_1)
	v_cmpx_gt_u64_e64 s[8:9], v[221:222]
	s_cbranch_execz .LBB0_15
; %bb.1:
	v_mul_hi_u32 v2, 0xcccccccd, v221
	s_clause 0x1
	s_load_b64 s[8:9], s[0:1], 0x0
	s_load_b64 s[12:13], s[0:1], 0x38
	v_mul_lo_u16 v1, v1, 51
	s_delay_alu instid0(VALU_DEP_1) | instskip(NEXT) | instid1(VALU_DEP_3)
	v_sub_nc_u16 v0, v0, v1
	v_lshrrev_b32_e32 v2, 2, v2
	s_delay_alu instid0(VALU_DEP_2) | instskip(NEXT) | instid1(VALU_DEP_2)
	v_and_b32_e32 v222, 0xffff, v0
	v_lshl_add_u32 v2, v2, 2, v2
	v_cmp_gt_u16_e32 vcc_lo, 45, v0
	s_delay_alu instid0(VALU_DEP_3) | instskip(NEXT) | instid1(VALU_DEP_3)
	v_lshlrev_b32_e32 v255, 4, v222
	v_sub_nc_u32_e32 v1, v221, v2
	s_delay_alu instid0(VALU_DEP_1) | instskip(NEXT) | instid1(VALU_DEP_1)
	v_mul_u32_u24_e32 v223, 0x2fd, v1
	v_lshlrev_b32_e32 v224, 4, v223
	s_and_saveexec_b32 s3, vcc_lo
	s_cbranch_execz .LBB0_3
; %bb.2:
	s_load_b64 s[4:5], s[0:1], 0x18
	s_wait_kmcnt 0x0
	s_load_b128 s[4:7], s[4:5], 0x0
	s_wait_kmcnt 0x0
	v_mad_co_u64_u32 v[16:17], null, s6, v221, 0
	v_mad_co_u64_u32 v[32:33], null, s4, v222, 0
	s_delay_alu instid0(VALU_DEP_1) | instskip(NEXT) | instid1(VALU_DEP_1)
	v_dual_mov_b32 v0, v17 :: v_dual_mov_b32 v1, v33
	v_mad_co_u64_u32 v[2:3], null, s7, v221, v[0:1]
	s_delay_alu instid0(VALU_DEP_1)
	v_mad_co_u64_u32 v[18:19], null, s5, v222, v[1:2]
	v_mov_b32_e32 v17, v2
	s_mul_u64 s[4:5], s[4:5], 0x2d0
	s_clause 0x3
	global_load_b128 v[0:3], v255, s[8:9]
	global_load_b128 v[4:7], v255, s[8:9] offset:720
	global_load_b128 v[8:11], v255, s[8:9] offset:1440
	global_load_b128 v[12:15], v255, s[8:9] offset:2160
	v_lshlrev_b64_e32 v[34:35], 4, v[16:17]
	v_mov_b32_e32 v33, v18
	s_clause 0x3
	global_load_b128 v[16:19], v255, s[8:9] offset:2880
	global_load_b128 v[20:23], v255, s[8:9] offset:3600
	;; [unrolled: 1-line block ×4, first 2 shown]
	v_add_co_u32 v42, s2, s10, v34
	v_lshlrev_b64_e32 v[40:41], 4, v[32:33]
	v_add_co_ci_u32_e64 v43, s2, s11, v35, s2
	s_clause 0x1
	global_load_b128 v[32:35], v255, s[8:9] offset:5760
	global_load_b128 v[36:39], v255, s[8:9] offset:6480
	v_add_co_u32 v56, s2, v42, v40
	s_wait_alu 0xf1ff
	v_add_co_ci_u32_e64 v57, s2, v43, v41, s2
	s_clause 0x1
	global_load_b128 v[40:43], v255, s[8:9] offset:7200
	global_load_b128 v[44:47], v255, s[8:9] offset:7920
	s_wait_alu 0xfffe
	v_add_co_u32 v60, s2, v56, s4
	s_wait_alu 0xf1ff
	v_add_co_ci_u32_e64 v61, s2, s5, v57, s2
	s_clause 0x1
	global_load_b128 v[48:51], v255, s[8:9] offset:8640
	global_load_b128 v[52:55], v255, s[8:9] offset:9360
	v_add_co_u32 v64, s2, v60, s4
	s_wait_alu 0xf1ff
	v_add_co_ci_u32_e64 v65, s2, s5, v61, s2
	s_clause 0x1
	global_load_b128 v[56:59], v[56:57], off
	global_load_b128 v[60:63], v[60:61], off
	v_add_co_u32 v68, s2, v64, s4
	s_wait_alu 0xf1ff
	v_add_co_ci_u32_e64 v69, s2, s5, v65, s2
	s_delay_alu instid0(VALU_DEP_2) | instskip(SKIP_1) | instid1(VALU_DEP_2)
	v_add_co_u32 v72, s2, v68, s4
	s_wait_alu 0xf1ff
	v_add_co_ci_u32_e64 v73, s2, s5, v69, s2
	s_clause 0x1
	global_load_b128 v[64:67], v[64:65], off
	global_load_b128 v[68:71], v[68:69], off
	v_add_co_u32 v76, s2, v72, s4
	s_wait_alu 0xf1ff
	v_add_co_ci_u32_e64 v77, s2, s5, v73, s2
	global_load_b128 v[72:75], v[72:73], off
	v_add_co_u32 v80, s2, v76, s4
	s_wait_alu 0xf1ff
	v_add_co_ci_u32_e64 v81, s2, s5, v77, s2
	;; [unrolled: 4-line block ×12, first 2 shown]
	s_clause 0x1
	global_load_b128 v[116:119], v255, s[8:9] offset:10080
	global_load_b128 v[120:123], v255, s[8:9] offset:10800
	global_load_b128 v[124:127], v[124:125], off
	global_load_b128 v[128:131], v255, s[8:9] offset:11520
	global_load_b128 v[132:135], v[132:133], off
	s_wait_loadcnt 0x13
	v_mul_f64_e32 v[136:137], v[58:59], v[2:3]
	v_mul_f64_e32 v[2:3], v[56:57], v[2:3]
	s_wait_loadcnt 0x12
	v_mul_f64_e32 v[138:139], v[62:63], v[6:7]
	v_mul_f64_e32 v[6:7], v[60:61], v[6:7]
	s_wait_loadcnt 0x11
	v_mul_f64_e32 v[140:141], v[66:67], v[10:11]
	v_mul_f64_e32 v[10:11], v[64:65], v[10:11]
	s_wait_loadcnt 0x10
	v_mul_f64_e32 v[142:143], v[70:71], v[14:15]
	v_mul_f64_e32 v[14:15], v[68:69], v[14:15]
	s_wait_loadcnt 0xf
	v_mul_f64_e32 v[144:145], v[74:75], v[18:19]
	v_mul_f64_e32 v[18:19], v[72:73], v[18:19]
	s_wait_loadcnt 0xe
	v_mul_f64_e32 v[146:147], v[78:79], v[22:23]
	v_mul_f64_e32 v[22:23], v[76:77], v[22:23]
	s_wait_loadcnt 0xd
	v_mul_f64_e32 v[148:149], v[82:83], v[26:27]
	v_mul_f64_e32 v[26:27], v[80:81], v[26:27]
	s_wait_loadcnt 0xc
	v_mul_f64_e32 v[150:151], v[86:87], v[30:31]
	v_mul_f64_e32 v[30:31], v[84:85], v[30:31]
	s_wait_loadcnt 0xb
	v_mul_f64_e32 v[152:153], v[90:91], v[34:35]
	v_mul_f64_e32 v[34:35], v[88:89], v[34:35]
	s_wait_loadcnt 0xa
	v_mul_f64_e32 v[154:155], v[94:95], v[38:39]
	v_mul_f64_e32 v[38:39], v[92:93], v[38:39]
	s_wait_loadcnt 0x9
	v_mul_f64_e32 v[156:157], v[98:99], v[42:43]
	v_mul_f64_e32 v[42:43], v[96:97], v[42:43]
	s_wait_loadcnt 0x8
	v_mul_f64_e32 v[158:159], v[102:103], v[46:47]
	v_mul_f64_e32 v[46:47], v[100:101], v[46:47]
	s_wait_loadcnt 0x7
	v_mul_f64_e32 v[160:161], v[106:107], v[50:51]
	v_mul_f64_e32 v[50:51], v[104:105], v[50:51]
	s_wait_loadcnt 0x6
	v_mul_f64_e32 v[162:163], v[110:111], v[54:55]
	v_mul_f64_e32 v[164:165], v[108:109], v[54:55]
	v_fma_f64 v[54:55], v[56:57], v[0:1], v[136:137]
	v_fma_f64 v[56:57], v[58:59], v[0:1], -v[2:3]
	v_fma_f64 v[0:1], v[60:61], v[4:5], v[138:139]
	v_fma_f64 v[2:3], v[62:63], v[4:5], -v[6:7]
	s_wait_loadcnt 0x4
	v_mul_f64_e32 v[166:167], v[114:115], v[118:119]
	v_mul_f64_e32 v[118:119], v[112:113], v[118:119]
	s_wait_loadcnt 0x2
	v_mul_f64_e32 v[168:169], v[126:127], v[122:123]
	v_mul_f64_e32 v[122:123], v[124:125], v[122:123]
	s_wait_loadcnt 0x0
	v_mul_f64_e32 v[170:171], v[134:135], v[130:131]
	v_mul_f64_e32 v[130:131], v[132:133], v[130:131]
	v_fma_f64 v[4:5], v[64:65], v[8:9], v[140:141]
	v_fma_f64 v[6:7], v[66:67], v[8:9], -v[10:11]
	v_fma_f64 v[8:9], v[68:69], v[12:13], v[142:143]
	v_fma_f64 v[10:11], v[70:71], v[12:13], -v[14:15]
	;; [unrolled: 2-line block ×12, first 2 shown]
	v_lshl_add_u32 v52, v222, 4, v224
	v_add_nc_u32_e32 v53, v224, v255
	v_fma_f64 v[58:59], v[112:113], v[116:117], v[166:167]
	v_fma_f64 v[60:61], v[114:115], v[116:117], -v[118:119]
	v_fma_f64 v[62:63], v[124:125], v[120:121], v[168:169]
	v_fma_f64 v[64:65], v[126:127], v[120:121], -v[122:123]
	;; [unrolled: 2-line block ×3, first 2 shown]
	ds_store_b128 v52, v[54:57]
	ds_store_b128 v53, v[0:3] offset:720
	ds_store_b128 v53, v[4:7] offset:1440
	;; [unrolled: 1-line block ×16, first 2 shown]
.LBB0_3:
	s_or_b32 exec_lo, exec_lo, s3
	s_clause 0x1
	s_load_b64 s[4:5], s[0:1], 0x20
	s_load_b64 s[2:3], s[0:1], 0x8
	global_wb scope:SCOPE_SE
	s_wait_dscnt 0x0
	s_wait_kmcnt 0x0
	s_barrier_signal -1
	s_barrier_wait -1
	global_inv scope:SCOPE_SE
                                        ; implicit-def: $vgpr8_vgpr9
                                        ; implicit-def: $vgpr28_vgpr29
                                        ; implicit-def: $vgpr36_vgpr37
                                        ; implicit-def: $vgpr40_vgpr41
                                        ; implicit-def: $vgpr44_vgpr45
                                        ; implicit-def: $vgpr52_vgpr53
                                        ; implicit-def: $vgpr56_vgpr57
                                        ; implicit-def: $vgpr64_vgpr65
                                        ; implicit-def: $vgpr68_vgpr69
                                        ; implicit-def: $vgpr72_vgpr73
                                        ; implicit-def: $vgpr60_vgpr61
                                        ; implicit-def: $vgpr48_vgpr49
                                        ; implicit-def: $vgpr32_vgpr33
                                        ; implicit-def: $vgpr24_vgpr25
                                        ; implicit-def: $vgpr20_vgpr21
                                        ; implicit-def: $vgpr16_vgpr17
                                        ; implicit-def: $vgpr12_vgpr13
	s_and_saveexec_b32 s0, vcc_lo
	s_cbranch_execz .LBB0_5
; %bb.4:
	v_lshl_add_u32 v0, v223, 4, v255
	ds_load_b128 v[8:11], v0
	ds_load_b128 v[28:31], v0 offset:720
	ds_load_b128 v[36:39], v0 offset:1440
	;; [unrolled: 1-line block ×16, first 2 shown]
.LBB0_5:
	s_wait_alu 0xfffe
	s_or_b32 exec_lo, exec_lo, s0
	s_wait_dscnt 0x0
	v_add_f64_e64 v[162:163], v[30:31], -v[14:15]
	v_add_f64_e64 v[168:169], v[28:29], -v[12:13]
	s_mov_b32 s0, 0x5d8e7cdc
	s_mov_b32 s10, 0x2a9d6da3
	s_mov_b32 s1, 0xbfd71e95
	s_mov_b32 s11, 0xbfe58eea
	v_add_f64_e32 v[160:161], v[28:29], v[12:13]
	v_add_f64_e32 v[166:167], v[30:31], v[14:15]
	v_add_f64_e64 v[90:91], v[38:39], -v[18:19]
	v_add_f64_e64 v[76:77], v[36:37], -v[16:17]
	s_mov_b32 s6, 0x370991
	s_mov_b32 s14, 0x75d4884
	s_mov_b32 s20, 0xeb564b22
	s_mov_b32 s7, 0x3fedd6d0
	s_mov_b32 s15, 0x3fe7a5f6
	s_mov_b32 s21, 0xbfefdd0d
	v_add_f64_e32 v[78:79], v[36:37], v[16:17]
	v_add_f64_e32 v[94:95], v[38:39], v[18:19]
	v_add_f64_e64 v[96:97], v[42:43], -v[22:23]
	v_add_f64_e64 v[80:81], v[40:41], -v[20:21]
	s_mov_b32 s16, 0x3259b75e
	s_mov_b32 s26, 0x7c9e640b
	;; [unrolled: 10-line block ×3, first 2 shown]
	s_mov_b32 s24, 0xacd6c6b4
	s_mov_b32 s29, 0x3fdc86fa
	;; [unrolled: 1-line block ×4, first 2 shown]
	v_add_f64_e32 v[86:87], v[44:45], v[24:25]
	v_add_f64_e32 v[110:111], v[46:47], v[26:27]
	s_wait_alu 0xfffe
	v_mul_f64_e32 v[176:177], s[0:1], v[162:163]
	v_mul_f64_e32 v[184:185], s[0:1], v[168:169]
	;; [unrolled: 1-line block ×4, first 2 shown]
	v_add_f64_e64 v[88:89], v[52:53], -v[32:33]
	v_add_f64_e64 v[114:115], v[54:55], -v[34:35]
	s_mov_b32 s30, 0x7faef3
	s_mov_b32 s34, 0x923c349f
	v_mul_f64_e32 v[136:137], s[10:11], v[90:91]
	v_mul_f64_e32 v[138:139], s[10:11], v[76:77]
	;; [unrolled: 1-line block ×4, first 2 shown]
	s_mov_b32 s36, 0x4363dd80
	s_mov_b32 s31, 0xbfef7484
	;; [unrolled: 1-line block ×4, first 2 shown]
	v_add_f64_e32 v[118:119], v[54:55], v[34:35]
	v_add_f64_e64 v[120:121], v[58:59], -v[50:51]
	v_mul_f64_e32 v[144:145], s[26:27], v[96:97]
	v_mul_f64_e32 v[148:149], s[26:27], v[80:81]
	;; [unrolled: 1-line block ×4, first 2 shown]
	s_mov_b32 s40, 0xc61f0d01
	s_mov_b32 s38, 0x910ea3b9
	s_mov_b32 s41, 0xbfd183b1
	s_mov_b32 s39, 0xbfeb34fa
	s_mov_b32 s49, 0x3feec746
	s_mov_b32 s48, s34
	v_mul_f64_e32 v[158:159], s[20:21], v[84:85]
	v_mul_f64_e32 v[152:153], s[20:21], v[106:107]
	;; [unrolled: 1-line block ×4, first 2 shown]
	v_add_f64_e64 v[124:125], v[66:67], -v[62:63]
	s_mov_b32 s47, 0xbfe0d888
	s_mov_b32 s43, 0x3feca52d
	;; [unrolled: 1-line block ×5, first 2 shown]
	v_fma_f64 v[0:1], v[160:161], s[6:7], v[176:177]
	v_fma_f64 v[2:3], v[166:167], s[6:7], -v[184:185]
	v_fma_f64 v[4:5], v[160:161], s[14:15], v[186:187]
	v_fma_f64 v[6:7], v[166:167], s[14:15], -v[193:194]
	v_mul_f64_e32 v[174:175], s[34:35], v[88:89]
	v_mul_f64_e32 v[172:173], s[34:35], v[114:115]
	;; [unrolled: 1-line block ×4, first 2 shown]
	v_fma_f64 v[92:93], v[78:79], s[14:15], v[136:137]
	v_fma_f64 v[98:99], v[94:95], s[14:15], -v[138:139]
	v_fma_f64 v[102:103], v[78:79], s[16:17], v[126:127]
	v_fma_f64 v[104:105], v[94:95], s[16:17], -v[130:131]
	s_mov_b32 s44, s0
	global_wb scope:SCOPE_SE
	s_barrier_signal -1
	s_barrier_wait -1
	global_inv scope:SCOPE_SE
	v_mul_f64_e32 v[182:183], s[18:19], v[120:121]
	v_fma_f64 v[108:109], v[82:83], s[28:29], v[144:145]
	v_fma_f64 v[112:113], v[100:101], s[28:29], -v[148:149]
	v_fma_f64 v[116:117], v[82:83], s[22:23], v[140:141]
	v_fma_f64 v[122:123], v[100:101], s[22:23], -v[142:143]
	v_mul_f64_e32 v[164:165], s[48:49], v[120:121]
	v_fma_f64 v[132:133], v[110:111], s[16:17], -v[158:159]
	v_fma_f64 v[128:129], v[86:87], s[16:17], v[152:153]
	v_fma_f64 v[134:135], v[86:87], s[30:31], v[146:147]
	v_fma_f64 v[178:179], v[110:111], s[30:31], -v[150:151]
	v_mul_f64_e32 v[197:198], s[46:47], v[124:125]
	v_add_f64_e32 v[0:1], v[8:9], v[0:1]
	v_add_f64_e32 v[2:3], v[10:11], v[2:3]
	;; [unrolled: 1-line block ×4, first 2 shown]
	v_fma_f64 v[190:191], v[118:119], s[40:41], -v[174:175]
	v_fma_f64 v[201:202], v[118:119], s[38:39], -v[156:157]
	v_add_f64_e32 v[0:1], v[92:93], v[0:1]
	v_add_f64_e32 v[2:3], v[98:99], v[2:3]
	;; [unrolled: 1-line block ×5, first 2 shown]
	v_add_f64_e64 v[98:99], v[56:57], -v[48:49]
	v_add_f64_e32 v[102:103], v[56:57], v[48:49]
	v_add_f64_e64 v[104:105], v[64:65], -v[60:61]
	v_add_f64_e32 v[0:1], v[108:109], v[0:1]
	v_add_f64_e32 v[2:3], v[112:113], v[2:3]
	;; [unrolled: 1-line block ×5, first 2 shown]
	v_mul_f64_e32 v[188:189], s[18:19], v[98:99]
	v_mul_f64_e32 v[170:171], s[48:49], v[98:99]
	v_fma_f64 v[116:117], v[92:93], s[40:41], v[172:173]
	v_fma_f64 v[195:196], v[92:93], s[38:39], v[154:155]
	v_add_f64_e32 v[108:109], v[64:65], v[60:61]
	v_add_f64_e64 v[112:113], v[68:69], -v[72:73]
	v_mul_f64_e32 v[199:200], s[46:47], v[104:105]
	v_mul_f64_e32 v[180:181], s[42:43], v[104:105]
	v_fma_f64 v[205:206], v[102:103], s[22:23], v[182:183]
	v_fma_f64 v[209:210], v[102:103], s[40:41], v[164:165]
	v_add_f64_e32 v[0:1], v[128:129], v[0:1]
	v_add_f64_e32 v[2:3], v[132:133], v[2:3]
	v_add_f64_e32 v[4:5], v[134:135], v[4:5]
	v_add_f64_e32 v[6:7], v[178:179], v[6:7]
	v_add_f64_e32 v[128:129], v[66:67], v[62:63]
	v_add_f64_e64 v[132:133], v[70:71], -v[74:75]
	v_mul_f64_e32 v[178:179], s[42:43], v[124:125]
	v_fma_f64 v[207:208], v[122:123], s[22:23], -v[188:189]
	v_fma_f64 v[211:212], v[122:123], s[40:41], -v[170:171]
	v_add_f64_e32 v[134:135], v[70:71], v[74:75]
	v_mul_f64_e32 v[203:204], s[24:25], v[112:113]
	v_fma_f64 v[213:214], v[108:109], s[38:39], v[197:198]
	v_add_f64_e32 v[0:1], v[116:117], v[0:1]
	v_add_f64_e32 v[2:3], v[190:191], v[2:3]
	;; [unrolled: 1-line block ×5, first 2 shown]
	v_mul_f64_e32 v[201:202], s[24:25], v[132:133]
	v_mul_f64_e32 v[190:191], s[44:45], v[132:133]
	;; [unrolled: 1-line block ×3, first 2 shown]
	v_fma_f64 v[215:216], v[128:129], s[38:39], -v[199:200]
	v_fma_f64 v[217:218], v[108:109], s[28:29], v[178:179]
	v_fma_f64 v[219:220], v[128:129], s[28:29], -v[180:181]
	v_add_f64_e32 v[0:1], v[205:206], v[0:1]
	v_add_f64_e32 v[2:3], v[207:208], v[2:3]
	;; [unrolled: 1-line block ×4, first 2 shown]
	v_fma_f64 v[207:208], v[134:135], s[30:31], -v[203:204]
	v_fma_f64 v[205:206], v[116:117], s[30:31], v[201:202]
	v_fma_f64 v[209:210], v[116:117], s[6:7], v[190:191]
	v_fma_f64 v[211:212], v[134:135], s[6:7], -v[195:196]
	v_add_f64_e32 v[0:1], v[213:214], v[0:1]
	v_add_f64_e32 v[2:3], v[215:216], v[2:3]
	;; [unrolled: 1-line block ×4, first 2 shown]
	s_delay_alu instid0(VALU_DEP_4) | instskip(NEXT) | instid1(VALU_DEP_4)
	v_add_f64_e32 v[225:226], v[205:206], v[0:1]
	v_add_f64_e32 v[227:228], v[207:208], v[2:3]
	s_delay_alu instid0(VALU_DEP_4) | instskip(NEXT) | instid1(VALU_DEP_4)
	v_add_f64_e32 v[229:230], v[209:210], v[4:5]
	v_add_f64_e32 v[231:232], v[211:212], v[6:7]
	s_and_saveexec_b32 s33, vcc_lo
	s_cbranch_execz .LBB0_7
; %bb.6:
	v_add_f64_e32 v[0:1], v[10:11], v[30:31]
	v_add_f64_e32 v[2:3], v[8:9], v[28:29]
	v_mul_f64_e32 v[4:5], s[38:39], v[166:167]
	v_mul_f64_e32 v[28:29], s[28:29], v[166:167]
	s_mov_b32 s53, 0x3fe9895b
	s_mov_b32 s52, s18
	;; [unrolled: 1-line block ×8, first 2 shown]
	s_delay_alu instid0(VALU_DEP_4) | instskip(NEXT) | instid1(VALU_DEP_4)
	v_add_f64_e32 v[0:1], v[0:1], v[38:39]
	v_add_f64_e32 v[2:3], v[2:3], v[36:37]
	s_delay_alu instid0(VALU_DEP_4)
	v_fma_f64 v[6:7], v[168:169], s[36:37], v[4:5]
	v_fma_f64 v[4:5], v[168:169], s[46:47], v[4:5]
	v_mul_f64_e32 v[38:39], s[24:25], v[162:163]
	v_fma_f64 v[30:31], v[168:169], s[42:43], v[28:29]
	v_mul_f64_e32 v[36:37], s[6:7], v[166:167]
	v_fma_f64 v[28:29], v[168:169], s[26:27], v[28:29]
	v_add_f64_e32 v[0:1], v[0:1], v[42:43]
	v_add_f64_e32 v[2:3], v[2:3], v[40:41]
	v_mul_f64_e32 v[40:41], s[46:47], v[162:163]
	v_mul_f64_e32 v[42:43], s[18:19], v[162:163]
	v_add_f64_e32 v[6:7], v[10:11], v[6:7]
	v_add_f64_e32 v[36:37], v[184:185], v[36:37]
	v_add_f64_e32 v[28:29], v[10:11], v[28:29]
	v_mul_f64_e32 v[184:185], s[16:17], v[134:135]
	v_add_f64_e32 v[0:1], v[0:1], v[46:47]
	v_add_f64_e32 v[2:3], v[2:3], v[44:45]
	v_mul_f64_e32 v[44:45], s[34:35], v[162:163]
	v_mul_f64_e32 v[46:47], s[20:21], v[162:163]
	s_delay_alu instid0(VALU_DEP_4) | instskip(NEXT) | instid1(VALU_DEP_4)
	v_add_f64_e32 v[0:1], v[0:1], v[54:55]
	v_add_f64_e32 v[2:3], v[2:3], v[52:53]
	v_fma_f64 v[52:53], v[160:161], s[38:39], v[40:41]
	v_fma_f64 v[40:41], v[160:161], s[38:39], -v[40:41]
	v_fma_f64 v[54:55], v[160:161], s[22:23], v[42:43]
	v_fma_f64 v[42:43], v[160:161], s[22:23], -v[42:43]
	v_add_f64_e32 v[0:1], v[0:1], v[58:59]
	v_add_f64_e32 v[2:3], v[2:3], v[56:57]
	v_fma_f64 v[56:57], v[160:161], s[40:41], v[44:45]
	v_fma_f64 v[44:45], v[160:161], s[40:41], -v[44:45]
	v_fma_f64 v[58:59], v[160:161], s[16:17], v[46:47]
	v_fma_f64 v[46:47], v[160:161], s[16:17], -v[46:47]
	v_add_f64_e32 v[52:53], v[8:9], v[52:53]
	v_add_f64_e32 v[40:41], v[8:9], v[40:41]
	;; [unrolled: 1-line block ×7, first 2 shown]
	v_mul_f64_e32 v[4:5], s[6:7], v[94:95]
	v_add_f64_e32 v[56:57], v[8:9], v[56:57]
	v_add_f64_e32 v[44:45], v[8:9], v[44:45]
	;; [unrolled: 1-line block ×6, first 2 shown]
	s_delay_alu instid0(VALU_DEP_2) | instskip(NEXT) | instid1(VALU_DEP_2)
	v_add_f64_e32 v[0:1], v[0:1], v[74:75]
	v_add_f64_e32 v[2:3], v[2:3], v[72:73]
	s_delay_alu instid0(VALU_DEP_2) | instskip(NEXT) | instid1(VALU_DEP_2)
	v_add_f64_e32 v[0:1], v[0:1], v[62:63]
	v_add_f64_e32 v[2:3], v[2:3], v[60:61]
	v_mul_f64_e32 v[62:63], s[6:7], v[160:161]
	s_delay_alu instid0(VALU_DEP_3) | instskip(NEXT) | instid1(VALU_DEP_3)
	v_add_f64_e32 v[0:1], v[0:1], v[50:51]
	v_add_f64_e32 v[2:3], v[2:3], v[48:49]
	v_mul_f64_e32 v[48:49], s[26:27], v[162:163]
	v_fma_f64 v[50:51], v[160:161], s[30:31], v[38:39]
	v_fma_f64 v[38:39], v[160:161], s[30:31], -v[38:39]
	v_add_f64_e64 v[62:63], v[62:63], -v[176:177]
	v_add_f64_e32 v[162:163], v[10:11], v[30:31]
	v_mul_f64_e32 v[176:177], s[34:35], v[124:125]
	v_add_f64_e32 v[0:1], v[0:1], v[34:35]
	v_add_f64_e32 v[2:3], v[2:3], v[32:33]
	v_mul_f64_e32 v[34:35], s[14:15], v[160:161]
	v_mul_f64_e32 v[32:33], s[14:15], v[166:167]
	v_fma_f64 v[60:61], v[160:161], s[28:29], v[48:49]
	v_fma_f64 v[48:49], v[160:161], s[28:29], -v[48:49]
	v_add_f64_e32 v[50:51], v[8:9], v[50:51]
	v_add_f64_e32 v[38:39], v[8:9], v[38:39]
	;; [unrolled: 1-line block ×4, first 2 shown]
	v_mul_f64_e32 v[24:25], s[16:17], v[166:167]
	v_add_f64_e64 v[34:35], v[34:35], -v[186:187]
	v_add_f64_e32 v[32:33], v[193:194], v[32:33]
	v_add_f64_e32 v[60:61], v[8:9], v[60:61]
	;; [unrolled: 1-line block ×3, first 2 shown]
	v_mul_f64_e32 v[48:49], s[22:23], v[118:119]
	v_mul_f64_e32 v[192:193], s[24:25], v[114:115]
	v_add_f64_e32 v[0:1], v[0:1], v[22:23]
	v_add_f64_e32 v[2:3], v[2:3], v[20:21]
	v_mul_f64_e32 v[20:21], s[40:41], v[166:167]
	v_fma_f64 v[26:27], v[168:169], s[50:51], v[24:25]
	v_fma_f64 v[24:25], v[168:169], s[20:21], v[24:25]
	v_add_f64_e32 v[0:1], v[0:1], v[18:19]
	v_add_f64_e32 v[2:3], v[2:3], v[16:17]
	v_mul_f64_e32 v[16:17], s[22:23], v[166:167]
	v_fma_f64 v[22:23], v[168:169], s[48:49], v[20:21]
	v_fma_f64 v[20:21], v[168:169], s[34:35], v[20:21]
	v_add_f64_e32 v[74:75], v[10:11], v[26:27]
	v_add_f64_e32 v[26:27], v[8:9], v[34:35]
	;; [unrolled: 1-line block ×4, first 2 shown]
	v_mul_f64_e32 v[32:33], s[46:47], v[96:97]
	v_mul_f64_e32 v[34:35], s[14:15], v[110:111]
	v_add_f64_e32 v[14:15], v[0:1], v[14:15]
	v_mul_f64_e32 v[0:1], s[30:31], v[166:167]
	v_add_f64_e32 v[12:13], v[2:3], v[12:13]
	v_fma_f64 v[18:19], v[168:169], s[52:53], v[16:17]
	v_fma_f64 v[16:17], v[168:169], s[18:19], v[16:17]
	v_add_f64_e32 v[70:71], v[10:11], v[22:23]
	v_add_f64_e32 v[22:23], v[8:9], v[62:63]
	v_fma_f64 v[8:9], v[76:77], s[0:1], v[4:5]
	v_add_f64_e32 v[72:73], v[10:11], v[20:21]
	v_add_f64_e32 v[20:21], v[10:11], v[36:37]
	v_fma_f64 v[4:5], v[76:77], s[44:45], v[4:5]
	v_mul_f64_e32 v[36:37], s[56:57], v[106:107]
	v_mul_f64_e32 v[62:63], s[28:29], v[122:123]
	;; [unrolled: 1-line block ×3, first 2 shown]
	v_fma_f64 v[2:3], v[168:169], s[54:55], v[0:1]
	v_fma_f64 v[0:1], v[168:169], s[24:25], v[0:1]
	v_add_f64_e32 v[66:67], v[10:11], v[18:19]
	v_add_f64_e32 v[68:69], v[10:11], v[16:17]
	v_mul_f64_e32 v[16:17], s[44:45], v[90:91]
	v_mul_f64_e32 v[18:19], s[38:39], v[100:101]
	;; [unrolled: 1-line block ×3, first 2 shown]
	v_add_f64_e32 v[2:3], v[10:11], v[2:3]
	v_add_f64_e32 v[0:1], v[10:11], v[0:1]
	s_delay_alu instid0(VALU_DEP_4) | instskip(NEXT) | instid1(VALU_DEP_3)
	v_fma_f64 v[10:11], v[80:81], s[36:37], v[18:19]
	v_add_f64_e32 v[2:3], v[8:9], v[2:3]
	v_fma_f64 v[8:9], v[78:79], s[6:7], v[16:17]
	s_delay_alu instid0(VALU_DEP_4)
	v_add_f64_e32 v[0:1], v[4:5], v[0:1]
	v_fma_f64 v[4:5], v[78:79], s[6:7], -v[16:17]
	v_fma_f64 v[16:17], v[80:81], s[46:47], v[18:19]
	v_add_f64_e32 v[2:3], v[10:11], v[2:3]
	v_add_f64_e32 v[8:9], v[8:9], v[50:51]
	v_fma_f64 v[10:11], v[82:83], s[38:39], v[32:33]
	v_add_f64_e32 v[4:5], v[4:5], v[38:39]
	v_add_f64_e32 v[0:1], v[16:17], v[0:1]
	v_fma_f64 v[16:17], v[82:83], s[38:39], -v[32:33]
	v_mul_f64_e32 v[50:51], s[18:19], v[114:115]
	v_mul_f64_e32 v[32:33], s[16:17], v[100:101]
	v_add_f64_e32 v[8:9], v[10:11], v[8:9]
	v_fma_f64 v[10:11], v[84:85], s[10:11], v[34:35]
	v_add_f64_e32 v[4:5], v[16:17], v[4:5]
	v_fma_f64 v[16:17], v[84:85], s[56:57], v[34:35]
	v_fma_f64 v[34:35], v[80:81], s[50:51], v[32:33]
	;; [unrolled: 1-line block ×3, first 2 shown]
	v_add_f64_e32 v[2:3], v[10:11], v[2:3]
	v_fma_f64 v[10:11], v[86:87], s[14:15], v[36:37]
	v_add_f64_e32 v[0:1], v[16:17], v[0:1]
	v_fma_f64 v[16:17], v[86:87], s[14:15], -v[36:37]
	s_delay_alu instid0(VALU_DEP_3) | instskip(SKIP_1) | instid1(VALU_DEP_3)
	v_add_f64_e32 v[8:9], v[10:11], v[8:9]
	v_fma_f64 v[10:11], v[88:89], s[52:53], v[48:49]
	v_add_f64_e32 v[4:5], v[16:17], v[4:5]
	v_fma_f64 v[16:17], v[88:89], s[18:19], v[48:49]
	s_delay_alu instid0(VALU_DEP_3) | instskip(SKIP_1) | instid1(VALU_DEP_3)
	v_add_f64_e32 v[2:3], v[10:11], v[2:3]
	v_fma_f64 v[10:11], v[92:93], s[22:23], v[50:51]
	v_add_f64_e32 v[0:1], v[16:17], v[0:1]
	v_fma_f64 v[16:17], v[92:93], s[22:23], -v[50:51]
	s_delay_alu instid0(VALU_DEP_3) | instskip(SKIP_1) | instid1(VALU_DEP_3)
	v_add_f64_e32 v[8:9], v[10:11], v[8:9]
	v_fma_f64 v[10:11], v[98:99], s[26:27], v[62:63]
	v_add_f64_e32 v[4:5], v[16:17], v[4:5]
	v_fma_f64 v[16:17], v[98:99], s[42:43], v[62:63]
	s_delay_alu instid0(VALU_DEP_3) | instskip(SKIP_1) | instid1(VALU_DEP_3)
	;; [unrolled: 10-line block ×3, first 2 shown]
	v_add_f64_e32 v[2:3], v[10:11], v[2:3]
	v_fma_f64 v[10:11], v[108:109], s[40:41], v[176:177]
	v_add_f64_e32 v[0:1], v[16:17], v[0:1]
	v_fma_f64 v[16:17], v[108:109], s[40:41], -v[176:177]
	s_delay_alu instid0(VALU_DEP_3) | instskip(SKIP_1) | instid1(VALU_DEP_3)
	v_add_f64_e32 v[8:9], v[10:11], v[8:9]
	v_fma_f64 v[10:11], v[112:113], s[20:21], v[184:185]
	v_add_f64_e32 v[4:5], v[16:17], v[4:5]
	v_fma_f64 v[16:17], v[112:113], s[50:51], v[184:185]
	v_mul_f64_e32 v[184:185], s[40:41], v[134:135]
	s_delay_alu instid0(VALU_DEP_4) | instskip(SKIP_1) | instid1(VALU_DEP_1)
	v_add_f64_e32 v[10:11], v[10:11], v[2:3]
	v_mul_f64_e32 v[2:3], s[50:51], v[132:133]
	v_fma_f64 v[186:187], v[116:117], s[16:17], v[2:3]
	v_fma_f64 v[18:19], v[116:117], s[16:17], -v[2:3]
	v_add_f64_e32 v[2:3], v[16:17], v[0:1]
	v_mul_f64_e32 v[16:17], s[28:29], v[94:95]
	s_delay_alu instid0(VALU_DEP_4) | instskip(NEXT) | instid1(VALU_DEP_4)
	v_add_f64_e32 v[8:9], v[186:187], v[8:9]
	v_add_f64_e32 v[0:1], v[18:19], v[4:5]
	v_mul_f64_e32 v[18:19], s[42:43], v[90:91]
	s_delay_alu instid0(VALU_DEP_4) | instskip(SKIP_2) | instid1(VALU_DEP_3)
	v_fma_f64 v[4:5], v[76:77], s[26:27], v[16:17]
	v_fma_f64 v[16:17], v[76:77], s[42:43], v[16:17]
	v_mul_f64_e32 v[186:187], s[34:35], v[132:133]
	v_add_f64_e32 v[4:5], v[4:5], v[6:7]
	v_fma_f64 v[6:7], v[78:79], s[28:29], v[18:19]
	s_delay_alu instid0(VALU_DEP_4)
	v_add_f64_e32 v[16:17], v[16:17], v[64:65]
	v_fma_f64 v[18:19], v[78:79], s[28:29], -v[18:19]
	v_mul_f64_e32 v[64:65], s[18:19], v[90:91]
	v_add_f64_e32 v[4:5], v[34:35], v[4:5]
	v_mul_f64_e32 v[34:35], s[20:21], v[96:97]
	v_add_f64_e32 v[6:7], v[6:7], v[52:53]
	v_add_f64_e32 v[18:19], v[18:19], v[40:41]
	;; [unrolled: 1-line block ×3, first 2 shown]
	v_mul_f64_e32 v[40:41], s[28:29], v[82:83]
	v_fma_f64 v[36:37], v[82:83], s[16:17], v[34:35]
	v_fma_f64 v[32:33], v[82:83], s[16:17], -v[34:35]
	v_fma_f64 v[34:35], v[116:117], s[40:41], -v[186:187]
	s_delay_alu instid0(VALU_DEP_4) | instskip(SKIP_4) | instid1(VALU_DEP_2)
	v_add_f64_e64 v[40:41], v[40:41], -v[144:145]
	v_mul_f64_e32 v[144:145], s[6:7], v[122:123]
	v_add_f64_e32 v[6:7], v[36:37], v[6:7]
	v_mul_f64_e32 v[36:37], s[22:23], v[110:111]
	v_add_f64_e32 v[18:19], v[32:33], v[18:19]
	v_fma_f64 v[38:39], v[84:85], s[18:19], v[36:37]
	v_fma_f64 v[32:33], v[84:85], s[52:53], v[36:37]
	v_mul_f64_e32 v[36:37], s[14:15], v[94:95]
	s_delay_alu instid0(VALU_DEP_3) | instskip(SKIP_1) | instid1(VALU_DEP_4)
	v_add_f64_e32 v[4:5], v[38:39], v[4:5]
	v_mul_f64_e32 v[38:39], s[52:53], v[106:107]
	v_add_f64_e32 v[16:17], v[32:33], v[16:17]
	s_delay_alu instid0(VALU_DEP_4) | instskip(SKIP_1) | instid1(VALU_DEP_4)
	v_add_f64_e32 v[36:37], v[138:139], v[36:37]
	v_mul_f64_e32 v[138:139], s[48:49], v[106:107]
	v_fma_f64 v[48:49], v[86:87], s[22:23], v[38:39]
	v_fma_f64 v[32:33], v[86:87], s[22:23], -v[38:39]
	v_mul_f64_e32 v[38:39], s[16:17], v[86:87]
	v_add_f64_e32 v[20:21], v[36:37], v[20:21]
	v_mul_f64_e32 v[36:37], s[22:23], v[102:103]
	v_add_f64_e32 v[6:7], v[48:49], v[6:7]
	;; [unrolled: 2-line block ×3, first 2 shown]
	v_add_f64_e64 v[38:39], v[38:39], -v[152:153]
	v_add_f64_e64 v[36:37], v[36:37], -v[182:183]
	v_mul_f64_e32 v[152:153], s[38:39], v[134:135]
	v_mul_f64_e32 v[182:183], s[56:57], v[132:133]
	v_fma_f64 v[50:51], v[88:89], s[44:45], v[48:49]
	v_fma_f64 v[32:33], v[88:89], s[0:1], v[48:49]
	v_mul_f64_e32 v[48:49], s[14:15], v[78:79]
	s_delay_alu instid0(VALU_DEP_3) | instskip(SKIP_1) | instid1(VALU_DEP_4)
	v_add_f64_e32 v[4:5], v[50:51], v[4:5]
	v_mul_f64_e32 v[50:51], s[0:1], v[114:115]
	v_add_f64_e32 v[16:17], v[32:33], v[16:17]
	s_delay_alu instid0(VALU_DEP_4) | instskip(SKIP_1) | instid1(VALU_DEP_4)
	v_add_f64_e64 v[48:49], v[48:49], -v[136:137]
	v_mul_f64_e32 v[136:137], s[40:41], v[110:111]
	v_fma_f64 v[52:53], v[92:93], s[6:7], v[50:51]
	v_fma_f64 v[32:33], v[92:93], s[6:7], -v[50:51]
	s_delay_alu instid0(VALU_DEP_4)
	v_add_f64_e32 v[22:23], v[48:49], v[22:23]
	v_mul_f64_e32 v[50:51], s[40:41], v[118:119]
	v_mul_f64_e32 v[48:49], s[16:17], v[78:79]
	v_add_f64_e32 v[6:7], v[52:53], v[6:7]
	v_mul_f64_e32 v[52:53], s[30:31], v[122:123]
	v_add_f64_e32 v[18:19], v[32:33], v[18:19]
	v_add_f64_e32 v[22:23], v[40:41], v[22:23]
	;; [unrolled: 1-line block ×3, first 2 shown]
	v_mul_f64_e32 v[40:41], s[22:23], v[82:83]
	v_add_f64_e64 v[48:49], v[48:49], -v[126:127]
	v_mul_f64_e32 v[126:127], s[30:31], v[100:101]
	v_mul_f64_e32 v[174:175], s[46:47], v[120:121]
	v_fma_f64 v[62:63], v[98:99], s[54:55], v[52:53]
	v_fma_f64 v[32:33], v[98:99], s[24:25], v[52:53]
	v_mul_f64_e32 v[52:53], s[40:41], v[92:93]
	v_add_f64_e32 v[22:23], v[38:39], v[22:23]
	v_mul_f64_e32 v[38:39], s[30:31], v[134:135]
	v_add_f64_e64 v[40:41], v[40:41], -v[140:141]
	v_add_f64_e32 v[26:27], v[48:49], v[26:27]
	v_mul_f64_e32 v[140:141], s[14:15], v[118:119]
	v_mul_f64_e32 v[48:49], s[38:39], v[94:95]
	v_add_f64_e32 v[4:5], v[62:63], v[4:5]
	v_mul_f64_e32 v[62:63], s[24:25], v[120:121]
	v_add_f64_e32 v[16:17], v[32:33], v[16:17]
	v_add_f64_e64 v[52:53], v[52:53], -v[172:173]
	v_add_f64_e32 v[38:39], v[203:204], v[38:39]
	v_mul_f64_e32 v[172:173], s[38:39], v[122:123]
	v_add_f64_e32 v[26:27], v[40:41], v[26:27]
	v_mul_f64_e32 v[204:205], s[18:19], v[132:133]
	v_fma_f64 v[166:167], v[102:103], s[30:31], v[62:63]
	v_fma_f64 v[32:33], v[102:103], s[30:31], -v[62:63]
	v_mul_f64_e32 v[62:63], s[22:23], v[122:123]
	v_add_f64_e32 v[22:23], v[52:53], v[22:23]
	v_mul_f64_e32 v[52:53], s[38:39], v[92:93]
	v_add_f64_e32 v[6:7], v[166:167], v[6:7]
	;; [unrolled: 2-line block ×3, first 2 shown]
	v_add_f64_e32 v[62:63], v[188:189], v[62:63]
	v_add_f64_e32 v[22:23], v[36:37], v[22:23]
	v_mul_f64_e32 v[36:37], s[30:31], v[116:117]
	v_add_f64_e64 v[52:53], v[52:53], -v[154:155]
	v_mul_f64_e32 v[154:155], s[46:47], v[132:133]
	v_mul_f64_e32 v[188:189], s[26:27], v[106:107]
	v_fma_f64 v[168:169], v[104:105], s[10:11], v[166:167]
	v_fma_f64 v[32:33], v[104:105], s[56:57], v[166:167]
	v_mul_f64_e32 v[166:167], s[44:45], v[106:107]
	v_add_f64_e64 v[36:37], v[36:37], -v[201:202]
	v_mul_f64_e32 v[202:203], s[22:23], v[134:135]
	v_add_f64_e32 v[4:5], v[168:169], v[4:5]
	v_mul_f64_e32 v[168:169], s[56:57], v[124:125]
	v_add_f64_e32 v[16:17], v[32:33], v[16:17]
	s_delay_alu instid0(VALU_DEP_2) | instskip(SKIP_2) | instid1(VALU_DEP_3)
	v_fma_f64 v[32:33], v[108:109], s[14:15], -v[168:169]
	v_fma_f64 v[176:177], v[108:109], s[14:15], v[168:169]
	v_mul_f64_e32 v[168:169], s[28:29], v[118:119]
	v_add_f64_e32 v[32:33], v[32:33], v[18:19]
	v_fma_f64 v[18:19], v[112:113], s[34:35], v[184:185]
	s_delay_alu instid0(VALU_DEP_4) | instskip(SKIP_2) | instid1(VALU_DEP_4)
	v_add_f64_e32 v[176:177], v[176:177], v[6:7]
	v_fma_f64 v[6:7], v[112:113], s[48:49], v[184:185]
	v_mul_f64_e32 v[184:185], s[56:57], v[96:97]
	v_add_f64_e32 v[18:19], v[18:19], v[16:17]
	v_add_f64_e32 v[16:17], v[34:35], v[32:33]
	v_mul_f64_e32 v[34:35], s[28:29], v[100:101]
	v_mul_f64_e32 v[32:33], s[16:17], v[110:111]
	v_add_f64_e32 v[6:7], v[6:7], v[4:5]
	v_fma_f64 v[4:5], v[116:117], s[40:41], v[186:187]
	v_mul_f64_e32 v[186:187], s[28:29], v[110:111]
	v_add_f64_e32 v[34:35], v[148:149], v[34:35]
	v_add_f64_e32 v[32:33], v[158:159], v[32:33]
	v_mul_f64_e32 v[148:149], s[16:17], v[128:129]
	v_mul_f64_e32 v[158:159], s[40:41], v[100:101]
	v_add_f64_e32 v[4:5], v[4:5], v[176:177]
	v_mul_f64_e32 v[176:177], s[22:23], v[128:129]
	v_add_f64_e32 v[20:21], v[34:35], v[20:21]
	v_mul_f64_e32 v[34:35], s[38:39], v[128:129]
	s_delay_alu instid0(VALU_DEP_2) | instskip(SKIP_1) | instid1(VALU_DEP_3)
	v_add_f64_e32 v[20:21], v[32:33], v[20:21]
	v_mul_f64_e32 v[32:33], s[38:39], v[108:109]
	v_add_f64_e32 v[34:35], v[199:200], v[34:35]
	v_mul_f64_e32 v[200:201], s[0:1], v[124:125]
	s_delay_alu instid0(VALU_DEP_4) | instskip(NEXT) | instid1(VALU_DEP_4)
	v_add_f64_e32 v[20:21], v[50:51], v[20:21]
	v_add_f64_e64 v[32:33], v[32:33], -v[197:198]
	v_mul_f64_e32 v[50:51], s[38:39], v[118:119]
	v_mul_f64_e32 v[198:199], s[6:7], v[128:129]
	s_delay_alu instid0(VALU_DEP_4) | instskip(NEXT) | instid1(VALU_DEP_4)
	v_add_f64_e32 v[20:21], v[62:63], v[20:21]
	v_add_f64_e32 v[32:33], v[32:33], v[22:23]
	s_delay_alu instid0(VALU_DEP_4) | instskip(SKIP_4) | instid1(VALU_DEP_4)
	v_add_f64_e32 v[50:51], v[156:157], v[50:51]
	v_mul_f64_e32 v[62:63], s[40:41], v[122:123]
	v_mul_f64_e32 v[156:157], s[24:25], v[90:91]
	v_add_f64_e32 v[20:21], v[34:35], v[20:21]
	v_mul_f64_e32 v[34:35], s[22:23], v[100:101]
	v_add_f64_e32 v[62:63], v[170:171], v[62:63]
	v_mul_f64_e32 v[170:171], s[26:27], v[114:115]
	s_delay_alu instid0(VALU_DEP_4)
	v_add_f64_e32 v[22:23], v[38:39], v[20:21]
	v_add_f64_e32 v[20:21], v[36:37], v[32:33]
	v_mul_f64_e32 v[36:37], s[16:17], v[94:95]
	v_mul_f64_e32 v[32:33], s[30:31], v[110:111]
	v_add_f64_e32 v[34:35], v[142:143], v[34:35]
	v_mul_f64_e32 v[38:39], s[30:31], v[86:87]
	v_mul_f64_e32 v[142:143], s[56:57], v[114:115]
	v_add_f64_e32 v[36:37], v[130:131], v[36:37]
	v_add_f64_e32 v[32:33], v[150:151], v[32:33]
	v_mul_f64_e32 v[130:131], s[54:55], v[96:97]
	v_add_f64_e64 v[38:39], v[38:39], -v[146:147]
	v_mul_f64_e32 v[146:147], s[0:1], v[120:121]
	v_mul_f64_e32 v[150:151], s[20:21], v[124:125]
	v_add_f64_e32 v[24:25], v[36:37], v[24:25]
	v_mul_f64_e32 v[36:37], s[40:41], v[102:103]
	v_add_f64_e32 v[26:27], v[38:39], v[26:27]
	v_mul_f64_e32 v[38:39], s[6:7], v[134:135]
	s_delay_alu instid0(VALU_DEP_4) | instskip(NEXT) | instid1(VALU_DEP_4)
	v_add_f64_e32 v[24:25], v[34:35], v[24:25]
	v_add_f64_e64 v[36:37], v[36:37], -v[164:165]
	v_mul_f64_e32 v[34:35], s[28:29], v[128:129]
	v_add_f64_e32 v[26:27], v[52:53], v[26:27]
	v_add_f64_e32 v[38:39], v[195:196], v[38:39]
	v_mul_f64_e32 v[52:53], s[30:31], v[94:95]
	v_mul_f64_e32 v[164:165], s[6:7], v[110:111]
	;; [unrolled: 1-line block ×4, first 2 shown]
	v_add_f64_e32 v[24:25], v[32:33], v[24:25]
	v_mul_f64_e32 v[32:33], s[28:29], v[108:109]
	v_add_f64_e32 v[34:35], v[180:181], v[34:35]
	v_add_f64_e32 v[26:27], v[36:37], v[26:27]
	v_mul_f64_e32 v[36:37], s[6:7], v[116:117]
	v_mul_f64_e32 v[180:181], s[14:15], v[134:135]
	v_add_f64_e32 v[24:25], v[50:51], v[24:25]
	v_add_f64_e64 v[32:33], v[32:33], -v[178:179]
	v_mul_f64_e32 v[178:179], s[52:53], v[124:125]
	v_mul_f64_e32 v[50:51], s[36:37], v[90:91]
	v_add_f64_e64 v[36:37], v[36:37], -v[190:191]
	v_mul_f64_e32 v[190:191], s[30:31], v[118:119]
	v_add_f64_e32 v[24:25], v[62:63], v[24:25]
	v_add_f64_e32 v[32:33], v[32:33], v[26:27]
	v_mul_f64_e32 v[62:63], s[22:23], v[94:95]
	s_delay_alu instid0(VALU_DEP_3) | instskip(SKIP_1) | instid1(VALU_DEP_2)
	v_add_f64_e32 v[24:25], v[34:35], v[24:25]
	v_fma_f64 v[34:35], v[78:79], s[30:31], -v[156:157]
	v_add_f64_e32 v[26:27], v[38:39], v[24:25]
	v_add_f64_e32 v[24:25], v[36:37], v[32:33]
	v_fma_f64 v[32:33], v[76:77], s[18:19], v[62:63]
	v_fma_f64 v[36:37], v[80:81], s[48:49], v[158:159]
	v_add_f64_e32 v[34:35], v[34:35], v[46:47]
	v_fma_f64 v[38:39], v[78:79], s[38:39], -v[50:51]
	v_mul_f64_e32 v[46:47], s[48:49], v[90:91]
	v_fma_f64 v[50:51], v[78:79], s[38:39], v[50:51]
	v_add_f64_e32 v[28:29], v[32:33], v[28:29]
	v_fma_f64 v[32:33], v[78:79], s[22:23], -v[64:65]
	v_add_f64_e32 v[38:39], v[38:39], v[44:45]
	v_mul_f64_e32 v[44:45], s[40:41], v[94:95]
	v_add_f64_e32 v[50:51], v[50:51], v[56:57]
	v_fma_f64 v[56:57], v[116:117], s[22:23], v[204:205]
	v_add_f64_e32 v[30:31], v[32:33], v[30:31]
	v_fma_f64 v[32:33], v[80:81], s[54:55], v[126:127]
	s_delay_alu instid0(VALU_DEP_1) | instskip(SKIP_1) | instid1(VALU_DEP_1)
	v_add_f64_e32 v[28:29], v[32:33], v[28:29]
	v_fma_f64 v[32:33], v[82:83], s[30:31], -v[130:131]
	v_add_f64_e32 v[30:31], v[32:33], v[30:31]
	v_fma_f64 v[32:33], v[84:85], s[48:49], v[136:137]
	s_delay_alu instid0(VALU_DEP_1) | instskip(SKIP_1) | instid1(VALU_DEP_1)
	v_add_f64_e32 v[28:29], v[32:33], v[28:29]
	v_fma_f64 v[32:33], v[86:87], s[40:41], -v[138:139]
	;; [unrolled: 5-line block ×6, first 2 shown]
	v_add_f64_e32 v[28:29], v[28:29], v[32:33]
	v_fma_f64 v[32:33], v[76:77], s[24:25], v[52:53]
	v_fma_f64 v[52:53], v[76:77], s[54:55], v[52:53]
	s_delay_alu instid0(VALU_DEP_2) | instskip(SKIP_1) | instid1(VALU_DEP_3)
	v_add_f64_e32 v[32:33], v[32:33], v[160:161]
	v_mul_f64_e32 v[160:161], s[48:49], v[96:97]
	v_add_f64_e32 v[52:53], v[52:53], v[74:75]
	s_delay_alu instid0(VALU_DEP_3) | instskip(NEXT) | instid1(VALU_DEP_3)
	v_add_f64_e32 v[32:33], v[36:37], v[32:33]
	v_fma_f64 v[36:37], v[82:83], s[40:41], -v[160:161]
	s_delay_alu instid0(VALU_DEP_1) | instskip(SKIP_1) | instid1(VALU_DEP_1)
	v_add_f64_e32 v[34:35], v[36:37], v[34:35]
	v_fma_f64 v[36:37], v[84:85], s[44:45], v[164:165]
	v_add_f64_e32 v[32:33], v[36:37], v[32:33]
	v_fma_f64 v[36:37], v[86:87], s[6:7], -v[166:167]
	s_delay_alu instid0(VALU_DEP_1) | instskip(SKIP_1) | instid1(VALU_DEP_1)
	v_add_f64_e32 v[34:35], v[36:37], v[34:35]
	v_fma_f64 v[36:37], v[88:89], s[26:27], v[168:169]
	;; [unrolled: 5-line block ×5, first 2 shown]
	v_add_f64_e32 v[34:35], v[34:35], v[32:33]
	v_fma_f64 v[32:33], v[116:117], s[14:15], -v[182:183]
	s_delay_alu instid0(VALU_DEP_1) | instskip(SKIP_2) | instid1(VALU_DEP_2)
	v_add_f64_e32 v[32:33], v[32:33], v[36:37]
	v_fma_f64 v[36:37], v[76:77], s[36:37], v[48:49]
	v_fma_f64 v[48:49], v[76:77], s[46:47], v[48:49]
	v_add_f64_e32 v[36:37], v[36:37], v[72:73]
	v_mul_f64_e32 v[72:73], s[14:15], v[100:101]
	s_delay_alu instid0(VALU_DEP_3) | instskip(NEXT) | instid1(VALU_DEP_2)
	v_add_f64_e32 v[48:49], v[48:49], v[70:71]
	v_fma_f64 v[40:41], v[80:81], s[56:57], v[72:73]
	s_delay_alu instid0(VALU_DEP_1) | instskip(SKIP_1) | instid1(VALU_DEP_1)
	v_add_f64_e32 v[36:37], v[40:41], v[36:37]
	v_fma_f64 v[40:41], v[82:83], s[14:15], -v[184:185]
	v_add_f64_e32 v[38:39], v[40:41], v[38:39]
	v_fma_f64 v[40:41], v[84:85], s[26:27], v[186:187]
	s_delay_alu instid0(VALU_DEP_1) | instskip(SKIP_1) | instid1(VALU_DEP_1)
	v_add_f64_e32 v[36:37], v[40:41], v[36:37]
	v_fma_f64 v[40:41], v[86:87], s[28:29], -v[188:189]
	;; [unrolled: 5-line block ×6, first 2 shown]
	v_add_f64_e32 v[36:37], v[36:37], v[40:41]
	v_fma_f64 v[40:41], v[76:77], s[48:49], v[44:45]
	v_fma_f64 v[44:45], v[76:77], s[34:35], v[44:45]
	s_delay_alu instid0(VALU_DEP_2) | instskip(SKIP_2) | instid1(VALU_DEP_4)
	v_add_f64_e32 v[40:41], v[40:41], v[68:69]
	v_fma_f64 v[68:69], v[78:79], s[40:41], -v[46:47]
	v_fma_f64 v[46:47], v[78:79], s[40:41], v[46:47]
	v_add_f64_e32 v[44:45], v[44:45], v[66:67]
	s_delay_alu instid0(VALU_DEP_3) | instskip(SKIP_1) | instid1(VALU_DEP_4)
	v_add_f64_e32 v[42:43], v[68:69], v[42:43]
	v_mul_f64_e32 v[68:69], s[6:7], v[100:101]
	v_add_f64_e32 v[46:47], v[46:47], v[54:55]
	s_delay_alu instid0(VALU_DEP_2) | instskip(SKIP_1) | instid1(VALU_DEP_2)
	v_fma_f64 v[90:91], v[80:81], s[0:1], v[68:69]
	v_fma_f64 v[54:55], v[80:81], s[44:45], v[68:69]
	v_add_f64_e32 v[40:41], v[90:91], v[40:41]
	v_mul_f64_e32 v[90:91], s[0:1], v[96:97]
	s_delay_alu instid0(VALU_DEP_3) | instskip(NEXT) | instid1(VALU_DEP_2)
	v_add_f64_e32 v[44:45], v[54:55], v[44:45]
	v_fma_f64 v[94:95], v[82:83], s[6:7], -v[90:91]
	v_fma_f64 v[54:55], v[82:83], s[6:7], v[90:91]
	s_delay_alu instid0(VALU_DEP_2) | instskip(SKIP_1) | instid1(VALU_DEP_3)
	v_add_f64_e32 v[42:43], v[94:95], v[42:43]
	v_mul_f64_e32 v[94:95], s[38:39], v[110:111]
	v_add_f64_e32 v[46:47], v[54:55], v[46:47]
	s_delay_alu instid0(VALU_DEP_2) | instskip(SKIP_1) | instid1(VALU_DEP_2)
	v_fma_f64 v[96:97], v[84:85], s[46:47], v[94:95]
	v_fma_f64 v[54:55], v[84:85], s[36:37], v[94:95]
	v_add_f64_e32 v[40:41], v[96:97], v[40:41]
	v_mul_f64_e32 v[96:97], s[46:47], v[106:107]
	s_delay_alu instid0(VALU_DEP_3) | instskip(NEXT) | instid1(VALU_DEP_2)
	v_add_f64_e32 v[44:45], v[54:55], v[44:45]
	v_fma_f64 v[100:101], v[86:87], s[38:39], -v[96:97]
	v_fma_f64 v[54:55], v[86:87], s[38:39], v[96:97]
	s_delay_alu instid0(VALU_DEP_2) | instskip(SKIP_1) | instid1(VALU_DEP_3)
	;; [unrolled: 13-line block ×4, first 2 shown]
	v_add_f64_e32 v[42:43], v[118:119], v[42:43]
	v_mul_f64_e32 v[118:119], s[30:31], v[128:129]
	v_add_f64_e32 v[46:47], v[54:55], v[46:47]
	v_mul_f64_e32 v[128:129], s[42:43], v[132:133]
	s_delay_alu instid0(VALU_DEP_3) | instskip(SKIP_1) | instid1(VALU_DEP_3)
	v_fma_f64 v[120:121], v[104:105], s[24:25], v[118:119]
	v_fma_f64 v[54:55], v[104:105], s[54:55], v[118:119]
	;; [unrolled: 1-line block ×3, first 2 shown]
	s_delay_alu instid0(VALU_DEP_3) | instskip(SKIP_3) | instid1(VALU_DEP_3)
	v_add_f64_e32 v[40:41], v[120:121], v[40:41]
	v_mul_f64_e32 v[120:121], s[24:25], v[124:125]
	v_mul_f64_e32 v[124:125], s[28:29], v[134:135]
	v_add_f64_e32 v[44:45], v[54:55], v[44:45]
	v_fma_f64 v[54:55], v[108:109], s[30:31], v[120:121]
	v_fma_f64 v[122:123], v[108:109], s[30:31], -v[120:121]
	s_delay_alu instid0(VALU_DEP_2) | instskip(SKIP_1) | instid1(VALU_DEP_3)
	v_add_f64_e32 v[54:55], v[54:55], v[46:47]
	v_fma_f64 v[46:47], v[112:113], s[26:27], v[124:125]
	v_add_f64_e32 v[122:123], v[122:123], v[42:43]
	v_fma_f64 v[42:43], v[112:113], s[42:43], v[124:125]
	s_delay_alu instid0(VALU_DEP_3) | instskip(SKIP_2) | instid1(VALU_DEP_4)
	v_add_f64_e32 v[46:47], v[46:47], v[44:45]
	v_add_f64_e32 v[44:45], v[66:67], v[54:55]
	v_fma_f64 v[54:55], v[80:81], s[10:11], v[72:73]
	v_add_f64_e32 v[42:43], v[42:43], v[40:41]
	v_fma_f64 v[40:41], v[116:117], s[28:29], -v[128:129]
	s_delay_alu instid0(VALU_DEP_3) | instskip(SKIP_1) | instid1(VALU_DEP_3)
	v_add_f64_e32 v[48:49], v[54:55], v[48:49]
	v_fma_f64 v[54:55], v[82:83], s[14:15], v[184:185]
	v_add_f64_e32 v[40:41], v[40:41], v[122:123]
	s_delay_alu instid0(VALU_DEP_2) | instskip(SKIP_1) | instid1(VALU_DEP_1)
	v_add_f64_e32 v[50:51], v[54:55], v[50:51]
	v_fma_f64 v[54:55], v[84:85], s[42:43], v[186:187]
	v_add_f64_e32 v[48:49], v[54:55], v[48:49]
	v_fma_f64 v[54:55], v[86:87], s[28:29], v[188:189]
	s_delay_alu instid0(VALU_DEP_1) | instskip(SKIP_1) | instid1(VALU_DEP_1)
	v_add_f64_e32 v[50:51], v[54:55], v[50:51]
	v_fma_f64 v[54:55], v[88:89], s[54:55], v[190:191]
	v_add_f64_e32 v[48:49], v[54:55], v[48:49]
	v_fma_f64 v[54:55], v[92:93], s[30:31], v[192:193]
	s_delay_alu instid0(VALU_DEP_1) | instskip(SKIP_1) | instid1(VALU_DEP_1)
	;; [unrolled: 5-line block ×4, first 2 shown]
	v_add_f64_e32 v[54:55], v[54:55], v[50:51]
	v_fma_f64 v[50:51], v[112:113], s[52:53], v[202:203]
	v_add_f64_e32 v[50:51], v[50:51], v[48:49]
	s_delay_alu instid0(VALU_DEP_3) | instskip(SKIP_2) | instid1(VALU_DEP_2)
	v_add_f64_e32 v[48:49], v[56:57], v[54:55]
	v_fma_f64 v[54:55], v[78:79], s[30:31], v[156:157]
	v_fma_f64 v[56:57], v[80:81], s[34:35], v[158:159]
	v_add_f64_e32 v[54:55], v[54:55], v[58:59]
	s_delay_alu instid0(VALU_DEP_2) | instskip(SKIP_2) | instid1(VALU_DEP_2)
	v_add_f64_e32 v[52:53], v[56:57], v[52:53]
	v_fma_f64 v[56:57], v[82:83], s[40:41], v[160:161]
	v_fma_f64 v[58:59], v[116:117], s[14:15], v[182:183]
	v_add_f64_e32 v[54:55], v[56:57], v[54:55]
	v_fma_f64 v[56:57], v[84:85], s[0:1], v[164:165]
	s_delay_alu instid0(VALU_DEP_1) | instskip(SKIP_1) | instid1(VALU_DEP_1)
	v_add_f64_e32 v[52:53], v[56:57], v[52:53]
	v_fma_f64 v[56:57], v[86:87], s[6:7], v[166:167]
	v_add_f64_e32 v[54:55], v[56:57], v[54:55]
	v_fma_f64 v[56:57], v[88:89], s[42:43], v[168:169]
	s_delay_alu instid0(VALU_DEP_1) | instskip(SKIP_1) | instid1(VALU_DEP_1)
	v_add_f64_e32 v[52:53], v[56:57], v[52:53]
	;; [unrolled: 5-line block ×4, first 2 shown]
	v_fma_f64 v[56:57], v[108:109], s[22:23], v[178:179]
	v_add_f64_e32 v[56:57], v[56:57], v[54:55]
	v_fma_f64 v[54:55], v[112:113], s[10:11], v[180:181]
	s_delay_alu instid0(VALU_DEP_1) | instskip(NEXT) | instid1(VALU_DEP_3)
	v_add_f64_e32 v[54:55], v[54:55], v[52:53]
	v_add_f64_e32 v[52:53], v[58:59], v[56:57]
	v_fma_f64 v[56:57], v[76:77], s[52:53], v[62:63]
	v_fma_f64 v[58:59], v[78:79], s[22:23], v[64:65]
	;; [unrolled: 1-line block ×4, first 2 shown]
	s_delay_alu instid0(VALU_DEP_4) | instskip(NEXT) | instid1(VALU_DEP_4)
	v_add_f64_e32 v[56:57], v[56:57], v[162:163]
	v_add_f64_e32 v[58:59], v[58:59], v[60:61]
	v_fma_f64 v[60:61], v[84:85], s[34:35], v[136:137]
	s_delay_alu instid0(VALU_DEP_3) | instskip(SKIP_1) | instid1(VALU_DEP_4)
	v_add_f64_e32 v[56:57], v[62:63], v[56:57]
	v_fma_f64 v[62:63], v[86:87], s[40:41], v[138:139]
	v_add_f64_e32 v[58:59], v[64:65], v[58:59]
	v_fma_f64 v[64:65], v[88:89], s[10:11], v[140:141]
	s_delay_alu instid0(VALU_DEP_4) | instskip(SKIP_1) | instid1(VALU_DEP_4)
	v_add_f64_e32 v[56:57], v[60:61], v[56:57]
	v_fma_f64 v[60:61], v[92:93], s[14:15], v[142:143]
	v_add_f64_e32 v[58:59], v[62:63], v[58:59]
	v_fma_f64 v[62:63], v[98:99], s[44:45], v[144:145]
	s_delay_alu instid0(VALU_DEP_4) | instskip(SKIP_1) | instid1(VALU_DEP_4)
	;; [unrolled: 5-line block ×4, first 2 shown]
	v_add_f64_e32 v[56:57], v[60:61], v[56:57]
	v_fma_f64 v[60:61], v[116:117], s[38:39], v[154:155]
	v_add_f64_e32 v[62:63], v[62:63], v[58:59]
	s_delay_alu instid0(VALU_DEP_3) | instskip(NEXT) | instid1(VALU_DEP_2)
	v_add_f64_e32 v[58:59], v[64:65], v[56:57]
	v_add_f64_e32 v[56:57], v[60:61], v[62:63]
	v_mul_lo_u16 v60, v222, 17
	s_delay_alu instid0(VALU_DEP_1) | instskip(NEXT) | instid1(VALU_DEP_1)
	v_and_b32_e32 v60, 0xffff, v60
	v_add_lshl_u32 v60, v223, v60, 4
	ds_store_b128 v60, v[12:15]
	ds_store_b128 v60, v[20:23] offset:16
	ds_store_b128 v60, v[24:27] offset:32
	;; [unrolled: 1-line block ×16, first 2 shown]
.LBB0_7:
	s_or_b32 exec_lo, exec_lo, s33
	v_and_b32_e32 v0, 0xff, v222
	v_add_co_u32 v3, null, v222, 51
	v_add_co_u32 v1, null, 0x66, v222
	s_delay_alu instid0(VALU_DEP_3) | instskip(NEXT) | instid1(VALU_DEP_3)
	v_mul_lo_u16 v0, 0xf1, v0
	v_and_b32_e32 v2, 0xff, v3
	s_load_b128 s[4:7], s[4:5], 0x0
	s_delay_alu instid0(VALU_DEP_3)
	v_and_b32_e32 v4, 0xff, v1
	global_wb scope:SCOPE_SE
	s_wait_dscnt 0x0
	v_lshrrev_b16 v5, 12, v0
	v_mul_lo_u16 v2, 0xf1, v2
	v_add_co_u32 v0, null, 0x99, v222
	v_mul_lo_u16 v9, 0xf1, v4
	s_delay_alu instid0(VALU_DEP_4) | instskip(NEXT) | instid1(VALU_DEP_4)
	v_mul_lo_u16 v7, v5, 17
	v_lshrrev_b16 v6, 12, v2
	s_delay_alu instid0(VALU_DEP_4) | instskip(SKIP_2) | instid1(VALU_DEP_4)
	v_and_b32_e32 v8, 0xff, v0
	v_add_co_u32 v2, null, 0xcc, v222
	v_lshrrev_b16 v49, 12, v9
	v_mul_lo_u16 v10, v6, 17
	s_delay_alu instid0(VALU_DEP_4) | instskip(NEXT) | instid1(VALU_DEP_4)
	v_mul_lo_u16 v8, 0xf1, v8
	v_and_b32_e32 v11, 0xff, v2
	v_sub_nc_u16 v7, v222, v7
	s_wait_kmcnt 0x0
	s_barrier_signal -1
	v_sub_nc_u16 v10, v3, v10
	v_lshrrev_b16 v50, 12, v8
	v_mul_lo_u16 v8, 0xf1, v11
	v_mul_lo_u16 v11, v49, 17
	v_lshlrev_b16 v9, 1, v7
	v_and_b32_e32 v48, 0xff, v10
	v_mul_lo_u16 v10, v50, 17
	v_lshrrev_b16 v53, 12, v8
	v_sub_nc_u16 v8, v1, v11
	v_and_b32_e32 v9, 0xfe, v9
	s_barrier_wait -1
	v_sub_nc_u16 v10, v0, v10
	v_mul_lo_u16 v12, v53, 17
	v_and_b32_e32 v51, 0xff, v8
	v_lshlrev_b32_e32 v9, 4, v9
	global_inv scope:SCOPE_SE
	v_and_b32_e32 v52, 0xff, v10
	v_sub_nc_u16 v8, v2, v12
	v_lshlrev_b32_e32 v11, 5, v48
	s_clause 0x1
	global_load_b128 v[20:23], v9, s[2:3] offset:16
	global_load_b128 v[40:43], v9, s[2:3]
	v_lshlrev_b32_e32 v9, 5, v51
	v_lshlrev_b32_e32 v10, 5, v52
	v_and_b32_e32 v54, 0xff, v8
	s_clause 0x4
	global_load_b128 v[44:47], v11, s[2:3]
	global_load_b128 v[32:35], v11, s[2:3] offset:16
	global_load_b128 v[127:130], v9, s[2:3]
	global_load_b128 v[36:39], v9, s[2:3] offset:16
	global_load_b128 v[24:27], v10, s[2:3]
	v_add_lshl_u32 v192, v223, v222, 4
	v_lshlrev_b32_e32 v8, 5, v54
	s_clause 0x2
	global_load_b128 v[28:31], v10, s[2:3] offset:16
	global_load_b128 v[135:138], v8, s[2:3]
	global_load_b128 v[131:134], v8, s[2:3] offset:16
	ds_load_b128 v[55:58], v192 offset:4080
	ds_load_b128 v[59:62], v192 offset:8160
	;; [unrolled: 1-line block ×11, first 2 shown]
	s_mov_b32 s10, 0xe8584caa
	s_mov_b32 s11, 0x3febb67a
	;; [unrolled: 1-line block ×3, first 2 shown]
	s_wait_alu 0xfffe
	s_mov_b32 s14, s10
	v_and_b32_e32 v6, 0xffff, v6
	v_mad_u16 v5, v5, 51, v7
	v_and_b32_e32 v7, 0xffff, v49
	s_mov_b32 s18, 0x134454ff
	s_mov_b32 s19, 0x3fee6f0e
	v_mul_u32_u24_e32 v6, 51, v6
	v_and_b32_e32 v5, 0xff, v5
	v_mul_u32_u24_e32 v7, 51, v7
	s_mov_b32 s21, 0xbfee6f0e
	s_wait_alu 0xfffe
	s_mov_b32 s20, s18
	s_mov_b32 s0, 0x4755a5e
	;; [unrolled: 1-line block ×4, first 2 shown]
	s_wait_alu 0xfffe
	s_mov_b32 s16, s0
	v_lshlrev_b32_e32 v0, 5, v0
	s_wait_loadcnt_dscnt 0x909
	v_mul_f64_e32 v[12:13], v[61:62], v[22:23]
	s_wait_loadcnt 0x8
	v_mul_f64_e32 v[8:9], v[57:58], v[42:43]
	v_mul_f64_e32 v[10:11], v[55:56], v[42:43]
	;; [unrolled: 1-line block ×3, first 2 shown]
	s_wait_loadcnt_dscnt 0x708
	v_mul_f64_e32 v[16:17], v[65:66], v[46:47]
	v_mul_f64_e32 v[18:19], v[63:64], v[46:47]
	s_wait_loadcnt_dscnt 0x607
	v_mul_f64_e32 v[99:100], v[69:70], v[34:35]
	v_mul_f64_e32 v[101:102], v[67:68], v[34:35]
	;; [unrolled: 3-line block ×4, first 2 shown]
	s_wait_loadcnt_dscnt 0x304
	v_mul_f64_e32 v[111:112], v[81:82], v[26:27]
	s_wait_loadcnt_dscnt 0x203
	v_mul_f64_e32 v[113:114], v[85:86], v[30:31]
	v_mul_f64_e32 v[115:116], v[79:80], v[26:27]
	v_mul_f64_e32 v[117:118], v[83:84], v[30:31]
	s_wait_loadcnt_dscnt 0x102
	v_mul_f64_e32 v[119:120], v[89:90], v[137:138]
	s_wait_loadcnt_dscnt 0x1
	v_mul_f64_e32 v[121:122], v[93:94], v[133:134]
	v_mul_f64_e32 v[123:124], v[87:88], v[137:138]
	;; [unrolled: 1-line block ×3, first 2 shown]
	s_clause 0x9
	scratch_store_b128 off, v[40:43], off offset:80
	scratch_store_b128 off, v[36:39], off offset:64
	scratch_store_b128 off, v[20:23], off
	scratch_store_b128 off, v[24:27], off offset:16
	scratch_store_b128 off, v[44:47], off offset:96
	;; [unrolled: 1-line block ×7, first 2 shown]
	v_fma_f64 v[12:13], v[59:60], v[20:21], -v[12:13]
	v_fma_f64 v[8:9], v[55:56], v[40:41], -v[8:9]
	v_fma_f64 v[10:11], v[57:58], v[40:41], v[10:11]
	v_fma_f64 v[14:15], v[61:62], v[20:21], v[14:15]
	v_fma_f64 v[16:17], v[63:64], v[44:45], -v[16:17]
	v_fma_f64 v[18:19], v[65:66], v[44:45], v[18:19]
	v_fma_f64 v[99:100], v[67:68], v[32:33], -v[99:100]
	;; [unrolled: 2-line block ×5, first 2 shown]
	v_fma_f64 v[83:84], v[83:84], v[28:29], -v[113:114]
	v_fma_f64 v[81:82], v[81:82], v[24:25], v[115:116]
	v_fma_f64 v[85:86], v[85:86], v[28:29], v[117:118]
	v_fma_f64 v[87:88], v[87:88], v[135:136], -v[119:120]
	v_fma_f64 v[91:92], v[91:92], v[131:132], -v[121:122]
	v_fma_f64 v[89:90], v[89:90], v[135:136], v[123:124]
	v_fma_f64 v[93:94], v[93:94], v[131:132], v[125:126]
	ds_load_b128 v[55:58], v192
	ds_load_b128 v[59:62], v192 offset:816
	ds_load_b128 v[63:66], v192 offset:1632
	;; [unrolled: 1-line block ×3, first 2 shown]
	v_mul_lo_u16 v20, 0xa1, v4
	v_lshlrev_b32_e32 v4, 6, v222
	global_wb scope:SCOPE_SE
	s_wait_storecnt_dscnt 0x0
	s_barrier_signal -1
	s_barrier_wait -1
	v_lshrrev_b16 v20, 13, v20
	global_inv scope:SCOPE_SE
	v_add_f64_e32 v[103:104], v[8:9], v[12:13]
	v_add_f64_e32 v[123:124], v[55:56], v[8:9]
	;; [unrolled: 1-line block ×3, first 2 shown]
	v_add_f64_e64 v[125:126], v[10:11], -v[14:15]
	v_add_f64_e32 v[10:11], v[57:58], v[10:11]
	v_add_f64_e32 v[107:108], v[16:17], v[99:100]
	;; [unrolled: 1-line block ×15, first 2 shown]
	v_add_f64_e64 v[8:9], v[8:9], -v[12:13]
	v_add_f64_e64 v[18:19], v[18:19], -v[101:102]
	;; [unrolled: 1-line block ×9, first 2 shown]
	v_add_f64_e32 v[135:136], v[67:68], v[79:80]
	v_add_f64_e32 v[137:138], v[69:70], v[81:82]
	v_fma_f64 v[103:104], v[103:104], -0.5, v[55:56]
	v_add_f64_e32 v[55:56], v[123:124], v[12:13]
	v_fma_f64 v[105:106], v[105:106], -0.5, v[57:58]
	v_add_lshl_u32 v12, v223, v5, 4
	v_add_f64_e32 v[57:58], v[10:11], v[14:15]
	v_fma_f64 v[107:108], v[107:108], -0.5, v[59:60]
	v_fma_f64 v[109:110], v[109:110], -0.5, v[61:62]
	v_add_f64_e32 v[59:60], v[127:128], v[99:100]
	v_add_f64_e32 v[61:62], v[129:130], v[101:102]
	v_fma_f64 v[111:112], v[111:112], -0.5, v[63:64]
	v_fma_f64 v[113:114], v[113:114], -0.5, v[65:66]
	v_add_f64_e32 v[63:64], v[131:132], v[75:76]
	v_fma_f64 v[115:116], v[115:116], -0.5, v[67:68]
	v_add_f64_e32 v[65:66], v[133:134], v[77:78]
	;; [unrolled: 2-line block ×4, first 2 shown]
	v_fma_f64 v[121:122], v[121:122], -0.5, v[97:98]
	v_add_nc_u32_e32 v5, v6, v48
	v_add_nc_u32_e32 v6, v7, v51
	v_mul_lo_u16 v10, v20, 51
	s_delay_alu instid0(VALU_DEP_3)
	v_add_lshl_u32 v11, v223, v5, 4
	v_add_f64_e32 v[67:68], v[135:136], v[83:84]
	v_add_f64_e32 v[69:70], v[137:138], v[85:86]
	v_fma_f64 v[75:76], v[125:126], s[10:11], v[103:104]
	v_fma_f64 v[79:80], v[125:126], s[14:15], v[103:104]
	v_fma_f64 v[77:78], v[8:9], s[14:15], v[105:106]
	v_fma_f64 v[81:82], v[8:9], s[10:11], v[105:106]
	v_and_b32_e32 v8, 0xffff, v50
	v_fma_f64 v[87:88], v[18:19], s[14:15], v[107:108]
	v_fma_f64 v[89:90], v[16:17], s[10:11], v[109:110]
	;; [unrolled: 1-line block ×16, first 2 shown]
	v_and_b32_e32 v9, 0xffff, v53
	v_mul_u32_u24_e32 v8, 51, v8
	ds_store_b128 v12, v[55:58]
	ds_store_b128 v12, v[75:78] offset:272
	v_mul_u32_u24_e32 v9, 51, v9
	v_add_nc_u32_e32 v7, v8, v52
	scratch_store_b32 off, v12, off offset:400 ; 4-byte Folded Spill
	ds_store_b128 v12, v[79:82] offset:544
	ds_store_b128 v11, v[59:62]
	ds_store_b128 v11, v[83:86] offset:272
	v_add_nc_u32_e32 v8, v9, v54
	v_add_lshl_u32 v9, v223, v6, 4
	v_add_lshl_u32 v6, v223, v7, 4
	scratch_store_b32 off, v11, off offset:396 ; 4-byte Folded Spill
	ds_store_b128 v11, v[87:90] offset:544
	ds_store_b128 v9, v[63:66]
	ds_store_b128 v9, v[91:94] offset:272
	v_add_lshl_u32 v5, v223, v8, 4
	scratch_store_b32 off, v9, off offset:392 ; 4-byte Folded Spill
	ds_store_b128 v9, v[95:98] offset:544
	ds_store_b128 v6, v[67:70]
	ds_store_b128 v6, v[99:102] offset:272
	scratch_store_b32 off, v6, off offset:356 ; 4-byte Folded Spill
	ds_store_b128 v6, v[103:106] offset:544
	ds_store_b128 v5, v[71:74]
	ds_store_b128 v5, v[107:110] offset:272
	scratch_store_b32 off, v5, off offset:320 ; 4-byte Folded Spill
	ds_store_b128 v5, v[111:114] offset:544
	v_sub_nc_u16 v5, v1, v10
	global_wb scope:SCOPE_SE
	s_wait_storecnt_dscnt 0x0
	s_barrier_signal -1
	s_barrier_wait -1
	global_inv scope:SCOPE_SE
	s_clause 0x3
	global_load_b128 v[60:63], v4, s[2:3] offset:544
	global_load_b128 v[56:59], v4, s[2:3] offset:560
	;; [unrolled: 1-line block ×4, first 2 shown]
	v_and_b32_e32 v5, 0xff, v5
	v_lshlrev_b32_e32 v1, 5, v1
	s_delay_alu instid0(VALU_DEP_2)
	v_lshlrev_b32_e32 v6, 6, v5
	s_clause 0x3
	global_load_b128 v[32:35], v6, s[2:3] offset:544
	global_load_b128 v[28:31], v6, s[2:3] offset:560
	;; [unrolled: 1-line block ×4, first 2 shown]
	ds_load_b128 v[80:83], v192 offset:2448
	ds_load_b128 v[84:87], v192 offset:4896
	;; [unrolled: 1-line block ×13, first 2 shown]
	s_wait_loadcnt_dscnt 0x60b
	v_mul_f64_e32 v[10:11], v[86:87], v[58:59]
	s_wait_loadcnt_dscnt 0x50a
	v_mul_f64_e32 v[12:13], v[90:91], v[54:55]
	v_mul_f64_e32 v[14:15], v[84:85], v[58:59]
	;; [unrolled: 1-line block ×5, first 2 shown]
	s_wait_loadcnt_dscnt 0x409
	v_mul_f64_e32 v[16:17], v[94:95], v[50:51]
	v_mul_f64_e32 v[18:19], v[92:93], v[50:51]
	s_wait_dscnt 0x8
	v_mul_f64_e32 v[134:135], v[98:99], v[62:63]
	v_mul_f64_e32 v[136:137], v[96:97], v[62:63]
	s_wait_dscnt 0x7
	v_mul_f64_e32 v[138:139], v[102:103], v[58:59]
	s_wait_dscnt 0x6
	v_mul_f64_e32 v[140:141], v[106:107], v[54:55]
	v_mul_f64_e32 v[142:143], v[100:101], v[58:59]
	;; [unrolled: 1-line block ×3, first 2 shown]
	s_wait_dscnt 0x5
	v_mul_f64_e32 v[144:145], v[110:111], v[50:51]
	v_mul_f64_e32 v[148:149], v[108:109], v[50:51]
	s_wait_loadcnt_dscnt 0x303
	v_mul_f64_e32 v[150:151], v[118:119], v[34:35]
	v_mul_f64_e32 v[152:153], v[116:117], v[34:35]
	s_wait_loadcnt_dscnt 0x202
	v_mul_f64_e32 v[154:155], v[122:123], v[30:31]
	s_wait_loadcnt_dscnt 0x101
	v_mul_f64_e32 v[156:157], v[126:127], v[26:27]
	v_mul_f64_e32 v[158:159], v[120:121], v[30:31]
	;; [unrolled: 1-line block ×3, first 2 shown]
	s_wait_loadcnt_dscnt 0x0
	v_mul_f64_e32 v[160:161], v[130:131], v[22:23]
	v_mul_f64_e32 v[164:165], v[128:129], v[22:23]
	s_clause 0x3
	scratch_store_b128 off, v[32:35], off offset:208
	scratch_store_b128 off, v[28:31], off offset:192
	;; [unrolled: 1-line block ×4, first 2 shown]
	v_fma_f64 v[10:11], v[84:85], v[56:57], -v[10:11]
	v_fma_f64 v[12:13], v[88:89], v[52:53], -v[12:13]
	v_fma_f64 v[14:15], v[86:87], v[56:57], v[14:15]
	v_fma_f64 v[88:89], v[90:91], v[52:53], v[132:133]
	v_fma_f64 v[6:7], v[80:81], v[60:61], -v[6:7]
	v_fma_f64 v[8:9], v[82:83], v[60:61], v[8:9]
	v_fma_f64 v[16:17], v[92:93], v[48:49], -v[16:17]
	;; [unrolled: 2-line block ×4, first 2 shown]
	v_fma_f64 v[96:97], v[104:105], v[52:53], -v[140:141]
	v_fma_f64 v[98:99], v[102:103], v[56:57], v[142:143]
	v_fma_f64 v[102:103], v[106:107], v[52:53], v[146:147]
	v_fma_f64 v[100:101], v[108:109], v[48:49], -v[144:145]
	v_fma_f64 v[104:105], v[110:111], v[48:49], v[148:149]
	v_fma_f64 v[106:107], v[116:117], v[32:33], -v[150:151]
	;; [unrolled: 2-line block ×3, first 2 shown]
	v_fma_f64 v[116:117], v[124:125], v[24:25], -v[156:157]
	v_fma_f64 v[118:119], v[122:123], v[28:29], v[158:159]
	v_fma_f64 v[122:123], v[126:127], v[24:25], v[162:163]
	v_fma_f64 v[120:121], v[128:129], v[20:21], -v[160:161]
	v_fma_f64 v[124:125], v[130:131], v[20:21], v[164:165]
	ds_load_b128 v[80:83], v192
	ds_load_b128 v[84:87], v192 offset:816
	global_wb scope:SCOPE_SE
	s_wait_storecnt_dscnt 0x0
	s_barrier_signal -1
	s_barrier_wait -1
	global_inv scope:SCOPE_SE
	v_add_f64_e32 v[126:127], v[10:11], v[12:13]
	v_add_f64_e64 v[162:163], v[10:11], -v[12:13]
	v_add_f64_e32 v[134:135], v[14:15], v[88:89]
	v_add_f64_e64 v[140:141], v[6:7], -v[10:11]
	v_add_f64_e64 v[148:149], v[10:11], -v[6:7]
	v_add_f64_e32 v[130:131], v[6:7], v[16:17]
	v_add_f64_e32 v[138:139], v[8:9], v[18:19]
	;; [unrolled: 1-line block ×4, first 2 shown]
	v_add_f64_e64 v[132:133], v[8:9], -v[18:19]
	v_add_f64_e32 v[142:143], v[94:95], v[96:97]
	v_add_f64_e64 v[144:145], v[16:17], -v[12:13]
	v_add_f64_e32 v[150:151], v[98:99], v[102:103]
	v_add_f64_e32 v[146:147], v[90:91], v[100:101]
	;; [unrolled: 1-line block ×3, first 2 shown]
	v_add_f64_e64 v[152:153], v[12:13], -v[16:17]
	v_add_f64_e64 v[6:7], v[6:7], -v[16:17]
	v_add_f64_e32 v[174:175], v[84:85], v[90:91]
	v_add_f64_e32 v[158:159], v[110:111], v[116:117]
	;; [unrolled: 1-line block ×8, first 2 shown]
	v_add_f64_e64 v[136:137], v[14:15], -v[88:89]
	v_add_f64_e64 v[168:169], v[8:9], -v[14:15]
	;; [unrolled: 1-line block ×13, first 2 shown]
	v_fma_f64 v[126:127], v[126:127], -0.5, v[80:81]
	v_add_f64_e64 v[182:183], v[100:101], -v[96:97]
	v_fma_f64 v[134:135], v[134:135], -0.5, v[82:83]
	v_add_f64_e64 v[186:187], v[96:97], -v[100:101]
	v_add_f64_e64 v[197:198], v[92:93], -v[98:99]
	v_fma_f64 v[80:81], v[130:131], -0.5, v[80:81]
	v_fma_f64 v[82:83], v[138:139], -0.5, v[82:83]
	v_add_f64_e32 v[10:11], v[128:129], v[10:11]
	v_add_f64_e32 v[14:15], v[156:157], v[14:15]
	v_add_f64_e64 v[92:93], v[98:99], -v[92:93]
	v_fma_f64 v[142:143], v[142:143], -0.5, v[84:85]
	v_add_f64_e64 v[138:139], v[102:103], -v[104:105]
	v_fma_f64 v[150:151], v[150:151], -0.5, v[86:87]
	v_fma_f64 v[84:85], v[146:147], -0.5, v[84:85]
	;; [unrolled: 1-line block ×3, first 2 shown]
	v_add_f64_e64 v[146:147], v[118:119], -v[122:123]
	v_add_f64_e64 v[201:202], v[106:107], -v[110:111]
	;; [unrolled: 1-line block ×3, first 2 shown]
	v_fma_f64 v[158:159], v[158:159], -0.5, v[112:113]
	v_add_f64_e64 v[205:206], v[108:109], -v[118:119]
	v_fma_f64 v[164:165], v[164:165], -0.5, v[114:115]
	v_fma_f64 v[112:113], v[160:161], -0.5, v[112:113]
	v_add_f64_e64 v[160:161], v[110:111], -v[116:117]
	v_fma_f64 v[114:115], v[166:167], -0.5, v[114:115]
	v_add_f64_e64 v[108:109], v[118:119], -v[108:109]
	v_add_f64_e64 v[209:210], v[122:123], -v[124:125]
	v_add_f64_e32 v[128:129], v[140:141], v[144:145]
	v_add_f64_e32 v[140:141], v[148:149], v[152:153]
	;; [unrolled: 1-line block ×7, first 2 shown]
	v_add_f64_e64 v[166:167], v[116:117], -v[120:121]
	v_add_f64_e64 v[130:131], v[104:105], -v[102:103]
	v_add_f64_e32 v[8:9], v[8:9], v[172:173]
	v_add_f64_e64 v[154:155], v[120:121], -v[116:117]
	v_add_f64_e64 v[207:208], v[124:125], -v[122:123]
	v_fma_f64 v[148:149], v[132:133], s[18:19], v[126:127]
	v_fma_f64 v[126:127], v[132:133], s[20:21], v[126:127]
	;; [unrolled: 1-line block ×4, first 2 shown]
	v_add_f64_e32 v[180:181], v[180:181], v[182:183]
	v_fma_f64 v[152:153], v[136:137], s[20:21], v[80:81]
	v_fma_f64 v[168:169], v[162:163], s[18:19], v[82:83]
	;; [unrolled: 1-line block ×4, first 2 shown]
	v_add_f64_e32 v[10:11], v[10:11], v[12:13]
	v_fma_f64 v[170:171], v[176:177], s[18:19], v[142:143]
	v_fma_f64 v[142:143], v[176:177], s[20:21], v[142:143]
	;; [unrolled: 1-line block ×16, first 2 shown]
	v_add_f64_e32 v[12:13], v[14:15], v[88:89]
	v_add_f64_e32 v[182:183], v[184:185], v[186:187]
	;; [unrolled: 1-line block ×12, first 2 shown]
	v_fma_f64 v[96:97], v[136:137], s[0:1], v[148:149]
	s_wait_alu 0xfffe
	v_fma_f64 v[98:99], v[136:137], s[16:17], v[126:127]
	v_fma_f64 v[108:109], v[162:163], s[16:17], v[156:157]
	;; [unrolled: 1-line block ×7, first 2 shown]
	v_add_f64_e32 v[80:81], v[10:11], v[16:17]
	v_fma_f64 v[118:119], v[178:179], s[0:1], v[170:171]
	v_fma_f64 v[122:123], v[178:179], s[16:17], v[142:143]
	;; [unrolled: 1-line block ×16, first 2 shown]
	s_mov_b32 s0, 0x372fe950
	s_mov_b32 s1, 0x3fd3c6ef
	v_add_f64_e32 v[82:83], v[12:13], v[18:19]
	v_add_lshl_u32 v194, v223, v5, 4
	v_add_f64_e32 v[84:85], v[14:15], v[100:101]
	v_add_f64_e32 v[86:87], v[88:89], v[104:105]
	;; [unrolled: 1-line block ×4, first 2 shown]
	v_lshl_add_u32 v193, v222, 4, v224
	s_wait_alu 0xfffe
	v_fma_f64 v[92:93], v[128:129], s[0:1], v[96:97]
	v_fma_f64 v[96:97], v[128:129], s[0:1], v[98:99]
	;; [unrolled: 1-line block ×8, first 2 shown]
	v_lshlrev_b32_e32 v6, 5, v222
	v_fma_f64 v[108:109], v[180:181], s[0:1], v[118:119]
	v_fma_f64 v[112:113], v[180:181], s[0:1], v[122:123]
	;; [unrolled: 1-line block ×16, first 2 shown]
	v_add_co_u32 v4, s0, s2, v4
	s_wait_alu 0xf1ff
	v_add_co_ci_u32_e64 v7, null, s3, 0, s0
	v_lshlrev_b32_e32 v8, 5, v3
	s_delay_alu instid0(VALU_DEP_3) | instskip(SKIP_1) | instid1(VALU_DEP_3)
	v_sub_co_u32 v3, s0, v4, v6
	s_wait_alu 0xf1ff
	v_subrev_co_ci_u32_e64 v4, s0, 0, v7, s0
	ds_store_b128 v192, v[80:83]
	ds_store_b128 v192, v[92:95] offset:816
	ds_store_b128 v192, v[100:103] offset:1632
	ds_store_b128 v192, v[104:107] offset:2448
	ds_store_b128 v192, v[96:99] offset:3264
	ds_store_b128 v192, v[84:87] offset:4080
	ds_store_b128 v192, v[108:111] offset:4896
	ds_store_b128 v192, v[116:119] offset:5712
	ds_store_b128 v192, v[120:123] offset:6528
	ds_store_b128 v192, v[112:115] offset:7344
	ds_store_b128 v194, v[88:91] offset:8160
	ds_store_b128 v194, v[124:127] offset:8976
	ds_store_b128 v194, v[132:135] offset:9792
	ds_store_b128 v194, v[136:139] offset:10608
	ds_store_b128 v194, v[128:131] offset:11424
	global_wb scope:SCOPE_SE
	s_wait_dscnt 0x0
	s_barrier_signal -1
	s_barrier_wait -1
	global_inv scope:SCOPE_SE
	s_clause 0x5
	global_load_b128 v[24:27], v[3:4], off offset:3808
	global_load_b128 v[20:23], v[3:4], off offset:3824
	global_load_b128 v[32:35], v8, s[2:3] offset:3808
	global_load_b128 v[28:31], v8, s[2:3] offset:3824
	;; [unrolled: 1-line block ×4, first 2 shown]
	v_lshlrev_b32_e32 v1, 5, v2
	s_clause 0x3
	global_load_b128 v[64:67], v0, s[2:3] offset:3808
	global_load_b128 v[44:47], v0, s[2:3] offset:3824
	;; [unrolled: 1-line block ×4, first 2 shown]
	ds_load_b128 v[0:3], v192 offset:4080
	ds_load_b128 v[4:7], v192 offset:8160
	;; [unrolled: 1-line block ×11, first 2 shown]
	s_wait_loadcnt_dscnt 0x90a
	v_mul_f64_e32 v[8:9], v[2:3], v[26:27]
	v_mul_f64_e32 v[10:11], v[0:1], v[26:27]
	s_wait_loadcnt_dscnt 0x809
	v_mul_f64_e32 v[12:13], v[6:7], v[22:23]
	v_mul_f64_e32 v[14:15], v[4:5], v[22:23]
	;; [unrolled: 3-line block ×6, first 2 shown]
	s_wait_loadcnt_dscnt 0x304
	v_mul_f64_e32 v[168:169], v[138:139], v[66:67]
	s_wait_loadcnt_dscnt 0x203
	v_mul_f64_e32 v[170:171], v[142:143], v[46:47]
	v_mul_f64_e32 v[172:173], v[136:137], v[66:67]
	;; [unrolled: 1-line block ×3, first 2 shown]
	s_wait_loadcnt_dscnt 0x102
	v_mul_f64_e32 v[176:177], v[146:147], v[74:75]
	s_wait_loadcnt_dscnt 0x1
	v_mul_f64_e32 v[178:179], v[150:151], v[70:71]
	v_mul_f64_e32 v[180:181], v[144:145], v[74:75]
	;; [unrolled: 1-line block ×3, first 2 shown]
	s_clause 0x9
	scratch_store_b128 off, v[24:27], off offset:240
	scratch_store_b128 off, v[20:23], off offset:224
	;; [unrolled: 1-line block ×10, first 2 shown]
	v_fma_f64 v[8:9], v[0:1], v[24:25], -v[8:9]
	v_fma_f64 v[10:11], v[2:3], v[24:25], v[10:11]
	v_fma_f64 v[12:13], v[4:5], v[20:21], -v[12:13]
	v_fma_f64 v[14:15], v[6:7], v[20:21], v[14:15]
	;; [unrolled: 2-line block ×6, first 2 shown]
	v_fma_f64 v[136:137], v[136:137], v[64:65], -v[168:169]
	v_fma_f64 v[140:141], v[140:141], v[44:45], -v[170:171]
	v_fma_f64 v[138:139], v[138:139], v[64:65], v[172:173]
	v_fma_f64 v[142:143], v[142:143], v[44:45], v[174:175]
	v_fma_f64 v[144:145], v[144:145], v[72:73], -v[176:177]
	v_fma_f64 v[148:149], v[148:149], v[68:69], -v[178:179]
	v_fma_f64 v[146:147], v[146:147], v[72:73], v[180:181]
	v_fma_f64 v[150:151], v[150:151], v[68:69], v[182:183]
	ds_load_b128 v[0:3], v192
	ds_load_b128 v[4:7], v192 offset:816
	ds_load_b128 v[120:123], v192 offset:1632
	;; [unrolled: 1-line block ×3, first 2 shown]
	v_add_f64_e32 v[160:161], v[8:9], v[12:13]
	v_add_f64_e32 v[162:163], v[10:11], v[14:15]
	s_wait_dscnt 0x3
	v_add_f64_e32 v[180:181], v[0:1], v[8:9]
	v_add_f64_e64 v[182:183], v[10:11], -v[14:15]
	v_add_f64_e32 v[164:165], v[16:17], v[156:157]
	v_add_f64_e32 v[166:167], v[18:19], v[158:159]
	;; [unrolled: 1-line block ×3, first 2 shown]
	s_wait_dscnt 0x2
	v_add_f64_e32 v[184:185], v[4:5], v[16:17]
	v_add_f64_e32 v[168:169], v[128:129], v[132:133]
	;; [unrolled: 1-line block ×5, first 2 shown]
	s_wait_dscnt 0x1
	v_add_f64_e32 v[188:189], v[120:121], v[128:129]
	v_add_f64_e32 v[174:175], v[138:139], v[142:143]
	;; [unrolled: 1-line block ×4, first 2 shown]
	s_wait_dscnt 0x0
	v_add_f64_e32 v[195:196], v[124:125], v[136:137]
	v_add_f64_e32 v[178:179], v[146:147], v[150:151]
	;; [unrolled: 1-line block ×5, first 2 shown]
	v_add_f64_e64 v[8:9], v[8:9], -v[12:13]
	v_add_f64_e64 v[18:19], v[18:19], -v[158:159]
	;; [unrolled: 1-line block ×9, first 2 shown]
	v_fma_f64 v[0:1], v[160:161], -0.5, v[0:1]
	v_fma_f64 v[2:3], v[162:163], -0.5, v[2:3]
	v_add_f64_e32 v[136:137], v[180:181], v[12:13]
	v_fma_f64 v[4:5], v[164:165], -0.5, v[4:5]
	v_fma_f64 v[6:7], v[166:167], -0.5, v[6:7]
	v_add_f64_e32 v[138:139], v[10:11], v[14:15]
	;; [unrolled: 3-line block ×3, first 2 shown]
	v_fma_f64 v[124:125], v[172:173], -0.5, v[124:125]
	v_add_f64_e32 v[170:171], v[186:187], v[158:159]
	v_fma_f64 v[126:127], v[174:175], -0.5, v[126:127]
	v_add_f64_e32 v[156:157], v[188:189], v[132:133]
	v_fma_f64 v[213:214], v[176:177], -0.5, v[152:153]
	v_add_f64_e32 v[158:159], v[190:191], v[134:135]
	v_fma_f64 v[217:218], v[178:179], -0.5, v[154:155]
	v_add_f64_e32 v[144:145], v[195:196], v[140:141]
	v_add_f64_e32 v[146:147], v[197:198], v[142:143]
	v_add_f64_e32 v[128:129], v[199:200], v[148:149]
	;; [unrolled: 1-line block ×3, first 2 shown]
	v_fma_f64 v[176:177], v[182:183], s[10:11], v[0:1]
	v_fma_f64 v[172:173], v[182:183], s[14:15], v[0:1]
	;; [unrolled: 1-line block ×20, first 2 shown]
	v_lshlrev_b32_e32 v0, 4, v222
	scratch_store_b32 off, v0, off offset:404 ; 4-byte Folded Spill
	v_add_nc_u32_e32 v0, v0, v224
	ds_store_b128 v193, v[136:139]
	ds_store_b128 v193, v[168:171] offset:816
	ds_store_b128 v193, v[172:175] offset:8160
	;; [unrolled: 1-line block ×14, first 2 shown]
	global_wb scope:SCOPE_SE
	s_wait_storecnt_dscnt 0x0
	s_barrier_signal -1
	s_barrier_wait -1
	global_inv scope:SCOPE_SE
	s_and_saveexec_b32 s2, vcc_lo
	s_cbranch_execz .LBB0_9
; %bb.8:
	global_load_b128 v[180:183], v255, s[8:9] offset:12240
	s_add_nc_u64 s[0:1], s[8:9], 0x2fd0
	s_clause 0x4
	global_load_b128 v[184:187], v255, s[0:1] offset:720
	global_load_b128 v[188:191], v255, s[0:1] offset:1440
	;; [unrolled: 1-line block ×5, first 2 shown]
	ds_load_b128 v[199:202], v193
	ds_load_b128 v[207:210], v193 offset:4320
	v_dual_mov_b32 v9, v221 :: v_dual_mov_b32 v10, v222
	v_dual_mov_b32 v21, v225 :: v_dual_mov_b32 v22, v226
	;; [unrolled: 1-line block ×6, first 2 shown]
	ds_load_b128 v[243:246], v193 offset:8640
	ds_load_b128 v[249:252], v193 offset:9360
	;; [unrolled: 1-line block ×7, first 2 shown]
	s_wait_loadcnt_dscnt 0x508
	v_mul_f64_e32 v[5:6], v[201:202], v[182:183]
	v_mul_f64_e32 v[7:8], v[199:200], v[182:183]
	s_delay_alu instid0(VALU_DEP_2) | instskip(NEXT) | instid1(VALU_DEP_2)
	v_fma_f64 v[199:200], v[199:200], v[180:181], -v[5:6]
	v_fma_f64 v[201:202], v[201:202], v[180:181], v[7:8]
	ds_load_b128 v[180:183], v193 offset:720
	s_wait_loadcnt_dscnt 0x400
	v_mul_f64_e32 v[5:6], v[182:183], v[186:187]
	v_mul_f64_e32 v[7:8], v[180:181], v[186:187]
	s_delay_alu instid0(VALU_DEP_2) | instskip(NEXT) | instid1(VALU_DEP_2)
	v_fma_f64 v[180:181], v[180:181], v[184:185], -v[5:6]
	v_fma_f64 v[182:183], v[182:183], v[184:185], v[7:8]
	ds_load_b128 v[184:187], v193 offset:1440
	;; [unrolled: 7-line block ×5, first 2 shown]
	s_wait_loadcnt_dscnt 0x0
	v_mul_f64_e32 v[1:2], v[197:198], v[205:206]
	v_mul_f64_e32 v[7:8], v[195:196], v[205:206]
	s_delay_alu instid0(VALU_DEP_2) | instskip(NEXT) | instid1(VALU_DEP_2)
	v_fma_f64 v[195:196], v[195:196], v[203:204], -v[1:2]
	v_fma_f64 v[197:198], v[197:198], v[203:204], v[7:8]
	global_load_b128 v[203:206], v255, s[0:1] offset:4320
	s_wait_loadcnt 0x0
	v_mul_f64_e32 v[1:2], v[209:210], v[205:206]
	v_mul_f64_e32 v[7:8], v[207:208], v[205:206]
	s_delay_alu instid0(VALU_DEP_2) | instskip(NEXT) | instid1(VALU_DEP_2)
	v_fma_f64 v[205:206], v[207:208], v[203:204], -v[1:2]
	v_fma_f64 v[207:208], v[209:210], v[203:204], v[7:8]
	global_load_b128 v[209:212], v255, s[0:1] offset:5040
	s_wait_loadcnt 0x0
	;; [unrolled: 7-line block ×4, first 2 shown]
	v_mul_f64_e32 v[1:2], v[227:228], v[223:224]
	v_mul_f64_e32 v[7:8], v[225:226], v[223:224]
	s_delay_alu instid0(VALU_DEP_2) | instskip(NEXT) | instid1(VALU_DEP_2)
	v_fma_f64 v[223:224], v[225:226], v[221:222], -v[1:2]
	v_fma_f64 v[225:226], v[227:228], v[221:222], v[7:8]
	global_load_b128 v[227:230], v255, s[0:1] offset:7200
	v_dual_mov_b32 v222, v10 :: v_dual_mov_b32 v221, v9
	s_wait_loadcnt 0x0
	v_mul_f64_e32 v[1:2], v[233:234], v[229:230]
	v_mul_f64_e32 v[7:8], v[231:232], v[229:230]
	s_delay_alu instid0(VALU_DEP_2) | instskip(NEXT) | instid1(VALU_DEP_2)
	v_fma_f64 v[229:230], v[231:232], v[227:228], -v[1:2]
	v_fma_f64 v[231:232], v[233:234], v[227:228], v[7:8]
	global_load_b128 v[233:236], v255, s[0:1] offset:7920
	s_wait_loadcnt 0x0
	v_mul_f64_e32 v[1:2], v[239:240], v[235:236]
	v_mul_f64_e32 v[7:8], v[237:238], v[235:236]
	s_delay_alu instid0(VALU_DEP_2) | instskip(NEXT) | instid1(VALU_DEP_2)
	v_fma_f64 v[235:236], v[237:238], v[233:234], -v[1:2]
	v_fma_f64 v[237:238], v[239:240], v[233:234], v[7:8]
	global_load_b128 v[239:242], v255, s[0:1] offset:8640
	;; [unrolled: 7-line block ×4, first 2 shown]
	ds_load_b128 v[7:10], v193 offset:10080
	s_wait_loadcnt_dscnt 0x0
	v_mul_f64_e32 v[1:2], v[9:10], v[253:254]
	v_mul_f64_e32 v[11:12], v[7:8], v[253:254]
	s_delay_alu instid0(VALU_DEP_2) | instskip(NEXT) | instid1(VALU_DEP_2)
	v_fma_f64 v[7:8], v[7:8], v[251:252], -v[1:2]
	v_fma_f64 v[9:10], v[9:10], v[251:252], v[11:12]
	global_load_b128 v[251:254], v255, s[0:1] offset:10800
	ds_load_b128 v[11:14], v193 offset:10800
	s_wait_loadcnt_dscnt 0x0
	v_mul_f64_e32 v[1:2], v[13:14], v[253:254]
	v_mul_f64_e32 v[15:16], v[11:12], v[253:254]
	s_delay_alu instid0(VALU_DEP_2) | instskip(NEXT) | instid1(VALU_DEP_2)
	v_fma_f64 v[11:12], v[11:12], v[251:252], -v[1:2]
	v_fma_f64 v[13:14], v[13:14], v[251:252], v[15:16]
	global_load_b128 v[251:254], v255, s[0:1] offset:11520
	ds_load_b128 v[15:18], v193 offset:11520
	ds_store_b128 v193, v[199:202]
	ds_store_b128 v193, v[180:183] offset:720
	ds_store_b128 v193, v[184:187] offset:1440
	;; [unrolled: 1-line block ×9, first 2 shown]
	v_dual_mov_b32 v228, v24 :: v_dual_mov_b32 v227, v23
	ds_store_b128 v193, v[229:232] offset:7200
	v_dual_mov_b32 v232, v28 :: v_dual_mov_b32 v231, v27
	v_dual_mov_b32 v226, v22 :: v_dual_mov_b32 v225, v21
	;; [unrolled: 1-line block ×4, first 2 shown]
	s_wait_loadcnt_dscnt 0xb
	v_mul_f64_e32 v[1:2], v[17:18], v[253:254]
	v_mul_f64_e32 v[203:204], v[15:16], v[253:254]
	s_delay_alu instid0(VALU_DEP_2) | instskip(NEXT) | instid1(VALU_DEP_2)
	v_fma_f64 v[15:16], v[15:16], v[251:252], -v[1:2]
	v_fma_f64 v[17:18], v[17:18], v[251:252], v[203:204]
	ds_store_b128 v193, v[235:238] offset:7920
	ds_store_b128 v193, v[241:244] offset:8640
	;; [unrolled: 1-line block ×6, first 2 shown]
.LBB0_9:
	s_wait_alu 0xfffe
	s_or_b32 exec_lo, exec_lo, s2
	global_wb scope:SCOPE_SE
	s_wait_dscnt 0x0
	s_barrier_signal -1
	s_barrier_wait -1
	global_inv scope:SCOPE_SE
	s_and_saveexec_b32 s0, vcc_lo
	s_cbranch_execz .LBB0_11
; %bb.10:
	ds_load_b128 v[136:139], v193
	ds_load_b128 v[176:179], v193 offset:720
	ds_load_b128 v[172:175], v193 offset:1440
	;; [unrolled: 1-line block ×16, first 2 shown]
.LBB0_11:
	s_wait_alu 0xfffe
	s_or_b32 exec_lo, exec_lo, s0
	v_add_nc_u32_e32 v182, 0x660, v0
	v_add_nc_u32_e32 v181, 0x990, v0
	;; [unrolled: 1-line block ×3, first 2 shown]
	global_wb scope:SCOPE_SE
	s_wait_dscnt 0x0
	s_barrier_signal -1
	s_barrier_wait -1
	global_inv scope:SCOPE_SE
	s_and_saveexec_b32 s33, vcc_lo
	s_cbranch_execz .LBB0_13
; %bb.12:
	v_add_f64_e64 v[243:244], v[176:177], -v[225:226]
	v_add_f64_e64 v[241:242], v[178:179], -v[227:228]
	;; [unrolled: 1-line block ×3, first 2 shown]
	s_mov_b32 s42, 0x923c349f
	s_mov_b32 s22, 0xacd6c6b4
	;; [unrolled: 1-line block ×6, first 2 shown]
	v_add_f64_e64 v[2:3], v[152:153], -v[140:141]
	v_add_f64_e32 v[233:234], v[178:179], v[227:228]
	v_add_f64_e64 v[239:240], v[174:175], -v[231:232]
	v_add_f64_e32 v[235:236], v[176:177], v[225:226]
	v_add_f64_e64 v[86:87], v[166:167], -v[126:127]
	s_mov_b32 s54, 0xeb564b22
	s_mov_b32 s36, 0x6c9a05f6
	;; [unrolled: 1-line block ×12, first 2 shown]
	s_clause 0x1
	scratch_store_b32 off, v180, off offset:424
	scratch_store_b32 off, v181, off offset:428
	v_add_f64_e64 v[237:238], v[172:173], -v[229:230]
	s_clause 0x1
	scratch_store_b128 off, v[225:228], off offset:440
	scratch_store_b32 off, v182, off offset:432
	v_add_f64_e64 v[247:248], v[168:169], -v[29:30]
	s_clause 0x3
	scratch_store_b32 off, v223, off offset:420
	scratch_store_b32 off, v224, off offset:436
	scratch_store_b64 off, v[221:222], off offset:408
	scratch_store_b32 off, v222, off offset:416
	v_add_f64_e32 v[221:222], v[168:169], v[29:30]
	s_mov_b32 s24, 0xc61f0d01
	s_mov_b32 s30, 0x7c9e640b
	;; [unrolled: 1-line block ×4, first 2 shown]
	s_wait_alu 0xfffe
	v_mul_f64_e32 v[245:246], s[28:29], v[243:244]
	v_mul_f64_e32 v[8:9], s[22:23], v[241:242]
	;; [unrolled: 1-line block ×3, first 2 shown]
	scratch_store_b128 off, v[229:232], off offset:456 ; 16-byte Folded Spill
	v_add_f64_e32 v[229:230], v[172:173], v[229:230]
	v_mul_f64_e32 v[70:71], s[28:29], v[241:242]
	v_mul_f64_e32 v[207:208], s[54:55], v[64:65]
	;; [unrolled: 1-line block ×3, first 2 shown]
	s_mov_b32 s25, 0xbfd183b1
	v_mul_f64_e32 v[12:13], s[42:43], v[2:3]
	s_mov_b32 s31, 0x3feca52d
	v_mul_f64_e32 v[84:85], s[26:27], v[239:240]
	s_mov_b32 s17, 0xbfe348c8
	s_mov_b32 s3, 0x3fedd6d0
	;; [unrolled: 1-line block ×6, first 2 shown]
	v_mul_f64_e32 v[4:5], s[22:23], v[243:244]
	v_add_f64_e32 v[225:226], v[174:175], v[231:232]
	v_add_f64_e64 v[223:224], v[170:171], -v[31:32]
	v_add_f64_e32 v[6:7], v[136:137], v[176:177]
	s_wait_alu 0xfffe
	v_mul_f64_e32 v[38:39], s[30:31], v[239:240]
	v_add_f64_e64 v[18:19], v[164:165], -v[124:125]
	s_mov_b32 s20, 0x2b2883cd
	s_mov_b32 s21, 0x3fdc86fa
	;; [unrolled: 1-line block ×3, first 2 shown]
	v_mul_f64_e32 v[22:23], s[30:31], v[237:238]
	v_mul_f64_e32 v[90:91], s[40:41], v[237:238]
	;; [unrolled: 1-line block ×3, first 2 shown]
	s_mov_b32 s35, 0xbfefdd0d
	s_mov_b32 s50, s36
	;; [unrolled: 1-line block ×3, first 2 shown]
	v_add_f64_e32 v[217:218], v[170:171], v[31:32]
	v_mul_f64_e32 v[36:37], s[44:45], v[86:87]
	v_mul_f64_e32 v[0:1], s[26:27], v[237:238]
	s_mov_b32 s14, 0x3259b75e
	s_mov_b32 s18, 0x75d4884
	v_fma_f64 v[26:27], v[233:234], s[10:11], v[245:246]
	v_fma_f64 v[46:47], v[235:236], s[0:1], -v[8:9]
	scratch_store_b64 off, v[10:11], off offset:472 ; 8-byte Folded Spill
	v_fma_f64 v[8:9], v[235:236], s[0:1], v[8:9]
	v_fma_f64 v[64:65], v[233:234], s[10:11], -v[245:246]
	v_mul_f64_e32 v[245:246], s[44:45], v[2:3]
	v_dual_mov_b32 v11, v3 :: v_dual_mov_b32 v10, v2
	v_dual_mov_b32 v2, v86 :: v_dual_mov_b32 v3, v87
	scratch_store_b128 off, v[29:32], off offset:504 ; 16-byte Folded Spill
	v_mul_f64_e32 v[28:29], s[42:43], v[243:244]
	v_fma_f64 v[44:45], v[229:230], s[2:3], -v[84:85]
	v_fma_f64 v[82:83], v[229:230], s[2:3], v[84:85]
	scratch_store_b64 off, v[2:3], off offset:608 ; 8-byte Folded Spill
	v_fma_f64 v[88:89], v[235:236], s[10:11], v[70:71]
	v_fma_f64 v[102:103], v[233:234], s[16:17], -v[249:250]
	s_wait_alu 0xfffe
	v_mul_f64_e32 v[84:85], s[50:51], v[86:87]
	v_fma_f64 v[34:35], v[233:234], s[0:1], v[4:5]
	v_fma_f64 v[68:69], v[233:234], s[0:1], -v[4:5]
	v_add_f64_e32 v[4:5], v[138:139], v[178:179]
	v_mul_f64_e32 v[86:87], s[34:35], v[223:224]
	v_fma_f64 v[108:109], v[229:230], s[20:21], -v[38:39]
	v_add_f64_e32 v[6:7], v[6:7], v[172:173]
	v_fma_f64 v[38:39], v[229:230], s[20:21], v[38:39]
	v_dual_mov_b32 v177, v19 :: v_dual_mov_b32 v176, v18
	s_mov_b32 s15, 0x3fb79ee6
	v_fma_f64 v[172:173], v[225:226], s[24:25], v[90:91]
	v_fma_f64 v[90:91], v[225:226], s[24:25], -v[90:91]
	v_fma_f64 v[120:121], v[225:226], s[10:11], v[98:99]
	v_fma_f64 v[98:99], v[225:226], s[10:11], -v[98:99]
	s_mov_b32 s19, 0x3fe7a5f6
	s_mov_b32 s49, 0xbfeca52d
	;; [unrolled: 1-line block ×3, first 2 shown]
	v_add_f64_e64 v[201:202], v[160:161], -v[128:129]
	v_add_f64_e32 v[209:210], v[166:167], v[126:127]
	v_mul_f64_e32 v[251:252], s[28:29], v[247:248]
	v_mul_f64_e32 v[253:254], s[36:37], v[241:242]
	v_add_f64_e32 v[46:47], v[136:137], v[46:47]
	v_mul_f64_e32 v[30:31], s[42:43], v[241:242]
	v_add_f64_e32 v[8:9], v[136:137], v[8:9]
	v_add_f64_e32 v[64:65], v[138:139], v[64:65]
	v_fma_f64 v[32:33], v[225:226], s[2:3], v[0:1]
	v_mul_f64_e32 v[40:41], s[28:29], v[223:224]
	v_fma_f64 v[66:67], v[225:226], s[2:3], -v[0:1]
	v_add_f64_e32 v[199:200], v[162:163], v[130:131]
	v_mul_f64_e32 v[18:19], s[44:45], v[176:177]
	v_fma_f64 v[42:43], v[235:236], s[10:11], -v[70:71]
	v_fma_f64 v[104:105], v[233:234], s[24:25], v[28:29]
	v_fma_f64 v[28:29], v[233:234], s[24:25], -v[28:29]
	v_mul_f64_e32 v[76:77], s[34:35], v[247:248]
	v_fma_f64 v[92:93], v[233:234], s[16:17], v[249:250]
	v_add_f64_e32 v[88:89], v[136:137], v[88:89]
	v_add_f64_e32 v[102:103], v[138:139], v[102:103]
	v_mul_f64_e32 v[94:95], s[40:41], v[239:240]
	v_add_f64_e32 v[34:35], v[138:139], v[34:35]
	v_add_f64_e32 v[68:69], v[138:139], v[68:69]
	;; [unrolled: 1-line block ×3, first 2 shown]
	v_mul_f64_e32 v[100:101], s[46:47], v[239:240]
	v_fma_f64 v[249:250], v[225:226], s[20:21], v[22:23]
	v_add_f64_e32 v[26:27], v[138:139], v[26:27]
	v_add_f64_e64 v[14:15], v[156:157], -v[132:133]
	v_add_f64_e64 v[24:25], v[162:163], -v[130:131]
	s_mov_b32 s39, 0xbfd71e95
	s_mov_b32 s38, s26
	v_add_f64_e32 v[211:212], v[164:165], v[124:125]
	v_mul_f64_e32 v[74:75], s[50:51], v[176:177]
	s_wait_alu 0xfffe
	v_mul_f64_e32 v[112:113], s[38:39], v[247:248]
	v_mul_f64_e32 v[114:115], s[38:39], v[223:224]
	;; [unrolled: 1-line block ×4, first 2 shown]
	v_add_f64_e32 v[190:191], v[158:159], v[134:135]
	v_mul_f64_e32 v[16:17], s[36:37], v[201:202]
	v_add_f64_e64 v[227:228], v[158:159], -v[134:135]
	v_fma_f64 v[0:1], v[217:218], s[10:11], v[251:252]
	v_fma_f64 v[96:97], v[235:236], s[16:17], -v[253:254]
	v_add_f64_e32 v[44:45], v[44:45], v[46:47]
	v_fma_f64 v[46:47], v[225:226], s[20:21], -v[22:23]
	v_add_f64_e32 v[8:9], v[82:83], v[8:9]
	v_mul_f64_e32 v[82:83], s[44:45], v[247:248]
	v_fma_f64 v[253:254], v[235:236], s[16:17], v[253:254]
	v_fma_f64 v[106:107], v[235:236], s[24:25], -v[30:31]
	v_fma_f64 v[110:111], v[221:222], s[10:11], -v[40:41]
	;; [unrolled: 1-line block ×3, first 2 shown]
	v_fma_f64 v[116:117], v[235:236], s[24:25], v[30:31]
	v_add_f64_e32 v[42:43], v[136:137], v[42:43]
	v_add_f64_e32 v[104:105], v[138:139], v[104:105]
	v_add_f64_e32 v[28:29], v[138:139], v[28:29]
	v_fma_f64 v[40:41], v[221:222], s[10:11], v[40:41]
	v_add_f64_e32 v[92:93], v[138:139], v[92:93]
	v_add_f64_e32 v[38:39], v[38:39], v[88:89]
	;; [unrolled: 1-line block ×3, first 2 shown]
	v_mul_f64_e32 v[102:103], s[48:49], v[176:177]
	v_add_f64_e32 v[32:33], v[32:33], v[34:35]
	v_add_f64_e32 v[66:67], v[66:67], v[68:69]
	v_add_f64_e32 v[4:5], v[4:5], v[170:171]
	v_fma_f64 v[174:175], v[229:230], s[24:25], -v[94:95]
	v_fma_f64 v[94:95], v[229:230], s[24:25], v[94:95]
	v_add_f64_e32 v[26:27], v[249:250], v[26:27]
	v_fma_f64 v[249:250], v[229:230], s[10:11], -v[100:101]
	v_dual_mov_b32 v232, v15 :: v_dual_mov_b32 v231, v14
	v_dual_mov_b32 v179, v25 :: v_dual_mov_b32 v178, v24
	v_add_f64_e32 v[203:204], v[160:161], v[128:129]
	v_mul_f64_e32 v[72:73], s[38:39], v[201:202]
	s_delay_alu instid0(VALU_DEP_4)
	v_mul_f64_e32 v[14:15], s[30:31], v[231:232]
	v_mul_f64_e32 v[22:23], s[28:29], v[176:177]
	;; [unrolled: 1-line block ×4, first 2 shown]
	v_fma_f64 v[100:101], v[229:230], s[10:11], v[100:101]
	v_add_f64_e32 v[6:7], v[6:7], v[168:169]
	v_fma_f64 v[168:169], v[233:234], s[14:15], v[70:71]
	v_add_f64_e32 v[96:97], v[136:137], v[96:97]
	v_mul_f64_e32 v[88:89], s[28:29], v[2:3]
	v_add_f64_e32 v[46:47], v[46:47], v[64:65]
	v_fma_f64 v[64:65], v[221:222], s[14:15], -v[86:87]
	v_fma_f64 v[86:87], v[221:222], s[14:15], v[86:87]
	v_add_f64_e32 v[253:254], v[136:137], v[253:254]
	v_add_f64_e32 v[106:107], v[136:137], v[106:107]
	;; [unrolled: 1-line block ×3, first 2 shown]
	v_fma_f64 v[110:111], v[217:218], s[14:15], v[76:77]
	v_add_f64_e32 v[116:117], v[136:137], v[116:117]
	v_add_f64_e32 v[42:43], v[108:109], v[42:43]
	;; [unrolled: 1-line block ×3, first 2 shown]
	v_fma_f64 v[120:121], v[217:218], s[18:19], v[82:83]
	v_add_f64_e32 v[28:29], v[98:99], v[28:29]
	v_fma_f64 v[82:83], v[217:218], s[18:19], -v[82:83]
	v_fma_f64 v[108:109], v[211:212], s[18:19], -v[36:37]
	v_fma_f64 v[36:37], v[211:212], s[18:19], v[36:37]
	v_fma_f64 v[76:77], v[217:218], s[14:15], -v[76:77]
	v_add_f64_e32 v[0:1], v[0:1], v[32:33]
	v_fma_f64 v[32:33], v[209:210], s[18:19], v[18:19]
	v_add_f64_e32 v[4:5], v[4:5], v[166:167]
	v_add_f64_e32 v[66:67], v[251:252], v[66:67]
	v_fma_f64 v[18:19], v[209:210], s[18:19], -v[18:19]
	v_add_f64_e32 v[40:41], v[40:41], v[8:9]
	v_add_f64_e32 v[92:93], v[172:173], v[92:93]
	v_fma_f64 v[172:173], v[217:218], s[2:3], v[112:113]
	v_fma_f64 v[112:113], v[217:218], s[2:3], -v[112:113]
	v_add_f64_e32 v[180:181], v[150:151], v[146:147]
	v_add_f64_e32 v[184:185], v[154:155], v[142:143]
	v_add_f64_e64 v[197:198], v[150:151], -v[146:147]
	v_add_f64_e32 v[195:196], v[156:157], v[132:133]
	v_mul_f64_e32 v[20:21], s[30:31], v[227:228]
	v_mul_f64_e32 v[122:123], s[22:23], v[231:232]
	;; [unrolled: 1-line block ×4, first 2 shown]
	v_fma_f64 v[98:99], v[203:204], s[16:17], -v[24:25]
	v_fma_f64 v[24:25], v[203:204], s[16:17], v[24:25]
	v_add_f64_e32 v[182:183], v[148:149], v[144:145]
	v_add_f64_e32 v[96:97], v[174:175], v[96:97]
	v_fma_f64 v[174:175], v[221:222], s[2:3], -v[114:115]
	v_fma_f64 v[114:115], v[221:222], s[2:3], v[114:115]
	v_add_f64_e64 v[205:206], v[154:155], -v[142:143]
	v_add_f64_e32 v[38:39], v[86:87], v[38:39]
	v_mul_f64_e32 v[86:87], s[22:23], v[201:202]
	v_add_f64_e32 v[94:95], v[94:95], v[253:254]
	v_add_f64_e32 v[106:107], v[249:250], v[106:107]
	v_fma_f64 v[249:250], v[221:222], s[18:19], -v[118:119]
	v_add_f64_e32 v[26:27], v[110:111], v[26:27]
	v_fma_f64 v[110:111], v[209:210], s[16:17], v[74:75]
	v_add_f64_e32 v[42:43], v[64:65], v[42:43]
	v_add_f64_e32 v[104:105], v[120:121], v[104:105]
	v_fma_f64 v[120:121], v[209:210], s[20:21], v[102:103]
	v_fma_f64 v[102:103], v[209:210], s[20:21], -v[102:103]
	v_add_f64_e32 v[28:29], v[82:83], v[28:29]
	v_add_f64_e32 v[44:45], v[108:109], v[44:45]
	v_mul_f64_e32 v[108:109], s[54:55], v[178:179]
	v_fma_f64 v[64:65], v[211:212], s[16:17], -v[84:85]
	v_add_f64_e32 v[0:1], v[32:33], v[0:1]
	v_fma_f64 v[32:33], v[199:200], s[16:17], v[16:17]
	v_fma_f64 v[16:17], v[199:200], s[16:17], -v[16:17]
	v_add_f64_e32 v[18:19], v[18:19], v[66:67]
	v_add_f64_e32 v[100:101], v[100:101], v[116:117]
	;; [unrolled: 1-line block ×3, first 2 shown]
	v_fma_f64 v[76:77], v[225:226], s[0:1], v[30:31]
	v_add_f64_e32 v[116:117], v[138:139], v[168:169]
	v_add_f64_e32 v[36:37], v[36:37], v[40:41]
	v_fma_f64 v[74:75], v[209:210], s[16:17], -v[74:75]
	v_fma_f64 v[84:85], v[211:212], s[16:17], v[84:85]
	v_add_f64_e32 v[92:93], v[172:173], v[92:93]
	v_fma_f64 v[172:173], v[209:210], s[10:11], v[22:23]
	v_add_f64_e32 v[90:91], v[112:113], v[90:91]
	v_fma_f64 v[22:23], v[209:210], s[10:11], -v[22:23]
	v_mul_f64_e32 v[219:220], s[54:55], v[197:198]
	v_mul_f64_e32 v[78:79], s[22:23], v[227:228]
	;; [unrolled: 1-line block ×3, first 2 shown]
	v_fma_f64 v[118:119], v[221:222], s[18:19], v[118:119]
	v_fma_f64 v[2:3], v[199:200], s[2:3], -v[72:73]
	v_add_f64_e32 v[96:97], v[174:175], v[96:97]
	v_fma_f64 v[174:175], v[211:212], s[10:11], -v[88:89]
	v_fma_f64 v[88:89], v[211:212], s[10:11], v[88:89]
	v_add_f64_e32 v[186:187], v[152:153], v[140:141]
	v_fma_f64 v[166:167], v[199:200], s[0:1], v[86:87]
	v_fma_f64 v[86:87], v[199:200], s[0:1], -v[86:87]
	v_add_f64_e32 v[94:95], v[114:115], v[94:95]
	v_add_f64_e32 v[106:107], v[249:250], v[106:107]
	v_fma_f64 v[249:250], v[190:191], s[20:21], v[14:15]
	v_add_f64_e32 v[26:27], v[110:111], v[26:27]
	v_fma_f64 v[110:111], v[199:200], s[2:3], v[72:73]
	v_fma_f64 v[14:15], v[190:191], s[20:21], -v[14:15]
	v_mul_f64_e32 v[215:216], s[44:45], v[205:206]
	v_mul_f64_e32 v[8:9], s[40:41], v[247:248]
	v_add_f64_e32 v[28:29], v[102:103], v[28:29]
	v_add_f64_e32 v[44:45], v[98:99], v[44:45]
	v_fma_f64 v[98:99], v[195:196], s[20:21], -v[20:21]
	v_add_f64_e32 v[42:43], v[64:65], v[42:43]
	v_fma_f64 v[64:65], v[203:204], s[2:3], -v[80:81]
	v_add_f64_e32 v[0:1], v[32:33], v[0:1]
	v_mul_f64_e32 v[188:189], s[42:43], v[205:206]
	v_add_f64_e32 v[16:17], v[16:17], v[18:19]
	v_mul_f64_e32 v[168:169], s[26:27], v[176:177]
	v_add_f64_e32 v[18:19], v[6:7], v[164:165]
	v_fma_f64 v[20:21], v[195:196], s[20:21], v[20:21]
	v_add_f64_e32 v[76:77], v[76:77], v[116:117]
	v_add_f64_e32 v[24:25], v[24:25], v[36:37]
	;; [unrolled: 1-line block ×3, first 2 shown]
	v_fma_f64 v[36:37], v[203:204], s[2:3], v[80:81]
	v_add_f64_e32 v[38:39], v[84:85], v[38:39]
	v_fma_f64 v[80:81], v[199:200], s[14:15], v[68:69]
	v_add_f64_e32 v[84:85], v[172:173], v[92:93]
	v_fma_f64 v[92:93], v[184:185], s[24:25], v[12:13]
	v_fma_f64 v[116:117], v[203:204], s[14:15], -v[108:109]
	v_add_f64_e32 v[22:23], v[22:23], v[90:91]
	v_fma_f64 v[90:91], v[203:204], s[14:15], v[108:109]
	v_fma_f64 v[108:109], v[190:191], s[0:1], v[122:123]
	v_fma_f64 v[32:33], v[211:212], s[20:21], -v[253:254]
	v_fma_f64 v[12:13], v[184:185], s[24:25], -v[12:13]
	s_mov_b32 s53, 0xbfe58eea
	s_mov_b32 s52, s44
	v_mul_f64_e32 v[213:214], s[22:23], v[10:11]
	s_wait_alu 0xfffe
	v_mul_f64_e32 v[34:35], s[52:53], v[231:232]
	v_mul_f64_e32 v[251:252], s[52:53], v[227:228]
	v_add_f64_e32 v[88:89], v[88:89], v[94:95]
	v_add_f64_e32 v[96:97], v[174:175], v[96:97]
	v_fma_f64 v[68:69], v[199:200], s[14:15], -v[68:69]
	v_fma_f64 v[82:83], v[211:212], s[20:21], v[253:254]
	v_add_f64_e32 v[26:27], v[110:111], v[26:27]
	v_mul_f64_e32 v[170:171], s[22:23], v[205:206]
	v_mul_f64_e32 v[40:41], s[54:55], v[231:232]
	v_fma_f64 v[164:165], v[217:218], s[24:25], v[8:9]
	v_add_f64_e32 v[28:29], v[86:87], v[28:29]
	scratch_load_b64 v[86:87], off, off offset:472 th:TH_LOAD_LU ; 8-byte Folded Reload
	v_add_f64_e32 v[44:45], v[98:99], v[44:45]
	v_add_f64_e32 v[98:99], v[118:119], v[100:101]
	v_fma_f64 v[100:101], v[195:196], s[0:1], -v[78:79]
	v_add_f64_e32 v[0:1], v[249:250], v[0:1]
	v_add_f64_e32 v[42:43], v[64:65], v[42:43]
	;; [unrolled: 1-line block ×4, first 2 shown]
	v_fma_f64 v[4:5], v[180:181], s[14:15], v[207:208]
	v_fma_f64 v[94:95], v[186:187], s[24:25], -v[188:189]
	v_add_f64_e32 v[18:19], v[18:19], v[160:161]
	v_fma_f64 v[64:65], v[209:210], s[2:3], v[168:169]
	v_add_f64_e32 v[2:3], v[2:3], v[46:47]
	v_add_f64_e32 v[20:21], v[20:21], v[24:25]
	;; [unrolled: 1-line block ×3, first 2 shown]
	v_fma_f64 v[24:25], v[195:196], s[0:1], v[78:79]
	v_add_f64_e32 v[46:47], v[80:81], v[84:85]
	v_add_f64_e32 v[36:37], v[36:37], v[38:39]
	v_mul_f64_e32 v[114:115], s[22:23], v[178:179]
	v_mul_f64_e32 v[74:75], s[54:55], v[227:228]
	;; [unrolled: 1-line block ×4, first 2 shown]
	v_add_f64_e32 v[32:33], v[32:33], v[106:107]
	v_fma_f64 v[106:107], v[190:191], s[0:1], -v[122:123]
	v_fma_f64 v[30:31], v[225:226], s[0:1], -v[30:31]
	;; [unrolled: 1-line block ×3, first 2 shown]
	v_fma_f64 v[38:39], v[190:191], s[18:19], v[34:35]
	v_fma_f64 v[78:79], v[195:196], s[18:19], -v[251:252]
	v_add_f64_e32 v[84:85], v[90:91], v[88:89]
	v_fma_f64 v[88:89], v[184:185], s[18:19], v[245:246]
	v_add_f64_e32 v[80:81], v[116:117], v[96:97]
	v_fma_f64 v[34:35], v[190:191], s[18:19], -v[34:35]
	v_add_f64_e32 v[26:27], v[108:109], v[26:27]
	v_add_f64_e32 v[22:23], v[68:69], v[22:23]
	v_fma_f64 v[68:69], v[195:196], s[18:19], v[251:252]
	v_add_f64_e32 v[76:77], v[164:165], v[76:77]
	v_fma_f64 v[90:91], v[190:191], s[14:15], v[40:41]
	v_fma_f64 v[40:41], v[190:191], s[14:15], -v[40:41]
	v_mul_f64_e32 v[108:109], s[48:49], v[247:248]
	v_mul_f64_e32 v[116:117], s[48:49], v[223:224]
	v_add_f64_e32 v[0:1], v[92:93], v[0:1]
	v_fma_f64 v[92:93], v[186:187], s[18:19], -v[215:216]
	v_add_f64_e32 v[42:43], v[100:101], v[42:43]
	scratch_store_b64 off, v[4:5], off offset:520 ; 8-byte Folded Spill
	v_fma_f64 v[4:5], v[182:183], s[14:15], -v[219:220]
	v_fma_f64 v[219:220], v[182:183], s[14:15], v[219:220]
	v_add_f64_e32 v[96:97], v[166:167], v[104:105]
	v_fma_f64 v[120:121], v[203:204], s[0:1], -v[114:115]
	v_fma_f64 v[104:105], v[195:196], s[14:15], -v[74:75]
	v_fma_f64 v[74:75], v[195:196], s[14:15], v[74:75]
	v_add_f64_e32 v[38:39], v[38:39], v[46:47]
	v_mul_f64_e32 v[46:47], s[30:31], v[197:198]
	v_add_f64_e32 v[78:79], v[78:79], v[80:81]
	v_fma_f64 v[80:81], v[184:185], s[0:1], -v[213:214]
	v_add_f64_e32 v[26:27], v[88:89], v[26:27]
	v_add_f64_e32 v[22:23], v[34:35], v[22:23]
	v_fma_f64 v[34:35], v[186:187], s[0:1], v[170:171]
	v_add_f64_e32 v[68:69], v[68:69], v[84:85]
	v_mul_f64_e32 v[84:85], s[34:35], v[241:242]
	v_mul_f64_e32 v[88:89], s[48:49], v[178:179]
	v_add_f64_e32 v[42:43], v[92:93], v[42:43]
	scratch_store_b64 off, v[4:5], off offset:528 ; 8-byte Folded Spill
	v_fma_f64 v[4:5], v[180:181], s[14:15], -v[207:208]
	scratch_store_b64 off, v[70:71], off offset:616 ; 8-byte Folded Spill
	v_dual_mov_b32 v71, v11 :: v_dual_mov_b32 v70, v10
	v_fma_f64 v[10:11], v[186:187], s[24:25], v[188:189]
	v_add_f64_e32 v[90:91], v[90:91], v[96:97]
	v_fma_f64 v[96:97], v[186:187], s[2:3], -v[112:113]
	s_delay_alu instid0(VALU_DEP_4)
	v_mul_f64_e32 v[66:67], s[38:39], v[70:71]
	v_add_f64_e32 v[32:33], v[120:121], v[32:33]
	v_mul_f64_e32 v[253:254], s[50:51], v[70:71]
	v_fma_f64 v[166:167], v[182:183], s[20:21], -v[46:47]
	scratch_store_b64 off, v[26:27], off offset:584 ; 8-byte Folded Spill
	v_mul_f64_e32 v[26:27], s[48:49], v[243:244]
	scratch_store_b64 off, v[42:43], off offset:600 ; 8-byte Folded Spill
	v_mul_f64_e32 v[42:43], s[52:53], v[243:244]
	scratch_store_b64 off, v[4:5], off offset:536 ; 8-byte Folded Spill
	v_add_f64_e32 v[4:5], v[12:13], v[14:15]
	v_add_f64_e32 v[12:13], v[16:17], v[158:159]
	;; [unrolled: 1-line block ×6, first 2 shown]
	scratch_store_b64 off, v[0:1], off offset:544 ; 8-byte Folded Spill
	v_add_f64_e32 v[0:1], v[94:95], v[44:45]
	v_add_f64_e32 v[44:45], v[82:83], v[98:99]
	v_add_f64_e64 v[98:99], v[148:149], -v[144:145]
	v_fma_f64 v[64:65], v[184:185], s[18:19], -v[245:246]
	v_fma_f64 v[10:11], v[186:187], s[18:19], v[215:216]
	v_add_f64_e32 v[20:21], v[24:25], v[36:37]
	v_add_f64_e32 v[158:159], v[80:81], v[22:23]
	v_fma_f64 v[22:23], v[182:183], s[20:21], v[46:47]
	v_mul_f64_e32 v[245:246], s[36:37], v[197:198]
	v_mul_f64_e32 v[82:83], s[42:43], v[197:198]
	v_fma_f64 v[16:17], v[199:200], s[20:21], v[6:7]
	v_fma_f64 v[36:37], v[184:185], s[0:1], v[213:214]
	v_add_f64_e32 v[32:33], v[104:105], v[32:33]
	v_fma_f64 v[94:95], v[186:187], s[0:1], -v[170:171]
	v_fma_f64 v[249:250], v[184:185], s[2:3], -v[66:67]
	v_mul_f64_e32 v[104:105], s[36:37], v[247:248]
	v_fma_f64 v[156:157], v[186:187], s[2:3], v[112:113]
	v_mul_f64_e32 v[106:107], s[36:37], v[223:224]
	v_fma_f64 v[6:7], v[199:200], s[20:21], -v[6:7]
	v_fma_f64 v[46:47], v[184:185], s[16:17], v[253:254]
	v_add_f64_e32 v[12:13], v[12:13], v[154:155]
	v_add_f64_e32 v[14:15], v[14:15], v[152:153]
	;; [unrolled: 1-line block ×3, first 2 shown]
	v_fma_f64 v[40:41], v[233:234], s[18:19], -v[42:43]
	scratch_store_b64 off, v[2:3], off offset:568 ; 8-byte Folded Spill
	v_fma_f64 v[28:29], v[235:236], s[14:15], v[84:85]
	v_fma_f64 v[42:43], v[233:234], s[18:19], v[42:43]
	v_mul_f64_e32 v[2:3], s[36:37], v[98:99]
	v_mul_f64_e32 v[24:25], s[30:31], v[98:99]
	v_dual_mov_b32 v189, v99 :: v_dual_mov_b32 v188, v98
	v_fma_f64 v[98:99], v[184:185], s[2:3], v[66:67]
	v_add_f64_e32 v[174:175], v[64:65], v[76:77]
	v_mul_f64_e32 v[64:65], s[38:39], v[241:242]
	v_add_f64_e32 v[172:173], v[10:11], v[20:21]
	v_mul_f64_e32 v[10:11], s[52:53], v[241:242]
	v_mul_f64_e32 v[20:21], s[48:49], v[241:242]
	v_add_f64_e32 v[241:242], v[34:35], v[68:69]
	v_add_f64_e32 v[16:17], v[16:17], v[18:19]
	v_mul_f64_e32 v[18:19], s[38:39], v[243:244]
	v_add_f64_e32 v[164:165], v[36:37], v[38:39]
	v_add_f64_e32 v[215:216], v[96:97], v[32:33]
	v_fma_f64 v[32:33], v[233:234], s[20:21], -v[26:27]
	v_mul_f64_e32 v[38:39], s[34:35], v[237:238]
	v_mul_f64_e32 v[68:69], s[34:35], v[239:240]
	v_fma_f64 v[26:27], v[233:234], s[20:21], v[26:27]
	v_fma_f64 v[243:244], v[182:183], s[24:25], v[82:83]
	v_add_f64_e32 v[160:161], v[94:95], v[78:79]
	v_mul_f64_e32 v[36:37], s[36:37], v[239:240]
	v_mul_f64_e32 v[251:252], s[44:45], v[188:189]
	;; [unrolled: 1-line block ×3, first 2 shown]
	v_add_f64_e32 v[12:13], v[12:13], v[150:151]
	v_add_f64_e32 v[14:15], v[14:15], v[148:149]
	;; [unrolled: 1-line block ×5, first 2 shown]
	v_fma_f64 v[34:35], v[180:181], s[16:17], v[2:3]
	v_fma_f64 v[170:171], v[180:181], s[20:21], v[24:25]
	v_fma_f64 v[162:163], v[180:181], s[20:21], -v[24:25]
	v_fma_f64 v[24:25], v[235:236], s[14:15], -v[84:85]
	v_mul_f64_e32 v[84:85], s[50:51], v[205:206]
	s_mov_b32 s51, 0x3fc7851a
	v_fma_f64 v[76:77], v[235:236], s[2:3], v[64:65]
	v_fma_f64 v[64:65], v[235:236], s[2:3], -v[64:65]
	v_fma_f64 v[80:81], v[235:236], s[18:19], v[10:11]
	v_fma_f64 v[10:11], v[235:236], s[18:19], -v[10:11]
	s_mov_b32 s50, s22
	v_fma_f64 v[2:3], v[180:181], s[16:17], -v[2:3]
	v_fma_f64 v[66:67], v[233:234], s[2:3], -v[18:19]
	v_fma_f64 v[18:19], v[233:234], s[2:3], v[18:19]
	s_wait_alu 0xfffe
	v_mul_f64_e32 v[94:95], s[50:51], v[247:248]
	v_add_f64_e32 v[32:33], v[138:139], v[32:33]
	v_fma_f64 v[102:103], v[225:226], s[14:15], -v[38:39]
	v_fma_f64 v[112:113], v[229:230], s[14:15], v[68:69]
	v_add_f64_e32 v[26:27], v[138:139], v[26:27]
	v_fma_f64 v[68:69], v[229:230], s[14:15], -v[68:69]
	v_mul_f64_e32 v[96:97], s[50:51], v[223:224]
	v_fma_f64 v[100:101], v[229:230], s[16:17], v[36:37]
	v_fma_f64 v[38:39], v[225:226], s[14:15], v[38:39]
	v_fma_f64 v[36:37], v[229:230], s[16:17], -v[36:37]
	v_add_f64_e32 v[12:13], v[12:13], v[146:147]
	scratch_load_b64 v[146:147], off, off offset:608 th:TH_LOAD_LU ; 8-byte Folded Reload
	v_add_f64_e32 v[14:15], v[14:15], v[144:145]
	v_fma_f64 v[144:145], v[221:222], s[16:17], v[106:107]
	scratch_store_b64 off, v[22:23], off offset:496 ; 8-byte Folded Spill
	v_mul_f64_e32 v[22:23], s[22:23], v[239:240]
	scratch_store_b64 off, v[34:35], off offset:472 ; 8-byte Folded Spill
	v_add_f64_e32 v[34:35], v[98:99], v[90:91]
	scratch_store_b64 off, v[0:1], off offset:552 ; 8-byte Folded Spill
	v_fma_f64 v[0:1], v[203:204], s[0:1], v[114:115]
	v_mul_f64_e32 v[90:91], s[40:41], v[223:224]
	v_add_f64_e32 v[24:25], v[136:137], v[24:25]
	v_add_f64_e32 v[76:77], v[136:137], v[76:77]
	;; [unrolled: 1-line block ×5, first 2 shown]
	scratch_load_b32 v223, off, off offset:420 ; 4-byte Folded Reload
	v_add_f64_e32 v[66:67], v[138:139], v[66:67]
	v_add_f64_e32 v[18:19], v[138:139], v[18:19]
	v_fma_f64 v[122:123], v[217:218], s[0:1], -v[94:95]
	v_add_f64_e32 v[40:41], v[102:103], v[40:41]
	v_fma_f64 v[102:103], v[217:218], s[16:17], -v[104:105]
	;; [unrolled: 2-line block ×4, first 2 shown]
	v_add_f64_e32 v[14:15], v[14:15], v[140:141]
	v_mul_f64_e32 v[140:141], s[34:35], v[176:177]
	v_fma_f64 v[92:93], v[229:230], s[0:1], -v[22:23]
	v_fma_f64 v[22:23], v[229:230], s[0:1], v[22:23]
	scratch_store_b64 off, v[34:35], off offset:480 ; 8-byte Folded Spill
	v_fma_f64 v[34:35], v[182:183], s[16:17], -v[245:246]
	v_add_f64_e32 v[0:1], v[0:1], v[44:45]
	v_fma_f64 v[44:45], v[182:183], s[24:25], -v[82:83]
	scratch_store_b64 off, v[4:5], off offset:560 ; 8-byte Folded Spill
	v_mul_f64_e32 v[4:5], s[28:29], v[231:232]
	v_fma_f64 v[82:83], v[235:236], s[20:21], v[20:21]
	v_fma_f64 v[120:121], v[221:222], s[24:25], -v[90:91]
	v_add_f64_e32 v[10:11], v[68:69], v[10:11]
	v_fma_f64 v[68:69], v[217:218], s[20:21], v[108:109]
	v_mul_f64_e32 v[108:109], s[46:47], v[201:202]
	v_fma_f64 v[20:21], v[235:236], s[20:21], -v[20:21]
	v_add_f64_e32 v[80:81], v[112:113], v[80:81]
	v_mul_f64_e32 v[112:113], s[46:47], v[178:179]
	v_add_f64_e32 v[40:41], v[102:103], v[40:41]
	v_add_f64_e32 v[12:13], v[12:13], v[134:135]
	v_add_f64_e32 v[14:15], v[14:15], v[132:133]
	v_mul_f64_e32 v[132:133], s[36:37], v[227:228]
	s_wait_loadcnt 0x2
	v_fma_f64 v[72:73], v[180:181], s[24:25], v[86:87]
	v_fma_f64 v[213:214], v[180:181], s[24:25], -v[86:87]
	v_mul_f64_e32 v[86:87], s[28:29], v[227:228]
	v_add_f64_e32 v[24:25], v[92:93], v[24:25]
	v_add_f64_e32 v[22:23], v[22:23], v[28:29]
	v_fma_f64 v[28:29], v[217:218], s[0:1], v[94:95]
	scratch_store_b64 off, v[34:35], off offset:488 ; 8-byte Folded Spill
	scratch_load_b64 v[34:35], off, off offset:616 th:TH_LOAD_LU ; 8-byte Folded Reload
	scratch_store_b64 off, v[44:45], off offset:592 ; 8-byte Folded Spill
	v_add_f64_e32 v[152:153], v[74:75], v[0:1]
	v_fma_f64 v[44:45], v[190:191], s[10:11], v[4:5]
	v_mul_f64_e32 v[0:1], s[36:37], v[237:238]
	v_mul_f64_e32 v[74:75], s[52:53], v[239:240]
	v_add_f64_e32 v[82:83], v[136:137], v[82:83]
	v_fma_f64 v[94:95], v[209:210], s[2:3], -v[168:169]
	v_add_f64_e32 v[10:11], v[42:43], v[10:11]
	v_add_f64_e32 v[20:21], v[136:137], v[20:21]
	;; [unrolled: 1-line block ×3, first 2 shown]
	v_fma_f64 v[42:43], v[209:210], s[14:15], v[140:141]
	v_fma_f64 v[4:5], v[190:191], s[10:11], -v[4:5]
	v_fma_f64 v[144:145], v[182:183], s[18:19], v[78:79]
	v_add_f64_e32 v[12:13], v[12:13], v[130:131]
	v_add_f64_e32 v[14:15], v[14:15], v[128:129]
	scratch_store_b64 off, v[72:73], off offset:576 ; 8-byte Folded Spill
	v_add_f64_e32 v[24:25], v[120:121], v[24:25]
	v_mul_f64_e32 v[120:121], s[42:43], v[178:179]
	v_add_f64_e32 v[16:17], v[44:45], v[16:17]
	v_mul_f64_e32 v[44:45], s[52:53], v[237:238]
	v_fma_f64 v[98:99], v[225:226], s[16:17], -v[0:1]
	v_fma_f64 v[114:115], v[229:230], s[18:19], v[74:75]
	v_fma_f64 v[0:1], v[225:226], s[16:17], v[0:1]
	v_fma_f64 v[74:75], v[229:230], s[18:19], -v[74:75]
	v_add_f64_e32 v[82:83], v[100:101], v[82:83]
	v_mul_f64_e32 v[100:101], s[44:45], v[178:179]
	v_add_f64_e32 v[20:21], v[36:37], v[20:21]
	v_fma_f64 v[36:37], v[217:218], s[16:17], v[104:105]
	v_add_f64_e32 v[12:13], v[12:13], v[126:127]
	v_add_f64_e32 v[14:15], v[14:15], v[124:125]
	v_fma_f64 v[110:111], v[225:226], s[18:19], -v[44:45]
	v_fma_f64 v[44:45], v[225:226], s[18:19], v[44:45]
	v_add_f64_e32 v[32:33], v[98:99], v[32:33]
	v_mul_f64_e32 v[98:99], s[22:23], v[176:177]
	v_add_f64_e32 v[76:77], v[114:115], v[76:77]
	v_fma_f64 v[114:115], v[221:222], s[20:21], v[116:117]
	v_add_f64_e32 v[0:1], v[0:1], v[26:27]
	v_add_f64_e32 v[64:65], v[74:75], v[64:65]
	v_fma_f64 v[26:27], v[221:222], s[0:1], -v[96:97]
	v_add_f64_e32 v[36:37], v[36:37], v[38:39]
	v_add_f64_e32 v[66:67], v[110:111], v[66:67]
	v_add_f64_e32 v[18:19], v[44:45], v[18:19]
	v_fma_f64 v[44:45], v[221:222], s[20:21], -v[116:117]
	v_fma_f64 v[116:117], v[209:210], s[0:1], -v[98:99]
	v_add_f64_e32 v[32:33], v[122:123], v[32:33]
	v_fma_f64 v[122:123], v[209:210], s[14:15], -v[140:141]
	v_add_f64_e32 v[0:1], v[28:29], v[0:1]
	v_add_f64_e32 v[76:77], v[114:115], v[76:77]
	;; [unrolled: 1-line block ×3, first 2 shown]
	v_fma_f64 v[26:27], v[209:210], s[0:1], v[98:99]
	v_fma_f64 v[114:115], v[203:204], s[10:11], v[112:113]
	v_mul_f64_e32 v[98:99], s[40:41], v[231:232]
	v_add_f64_e32 v[140:141], v[156:157], v[152:153]
	v_add_f64_e32 v[66:67], v[142:143], v[66:67]
	;; [unrolled: 1-line block ×4, first 2 shown]
	v_fma_f64 v[64:65], v[203:204], s[20:21], -v[88:89]
	v_add_f64_e32 v[40:41], v[116:117], v[40:41]
	v_mul_f64_e32 v[116:117], s[36:37], v[231:232]
	v_add_f64_e32 v[26:27], v[26:27], v[36:37]
	v_fma_f64 v[36:37], v[203:204], s[10:11], -v[112:113]
	v_mul_f64_e32 v[112:113], s[28:29], v[205:206]
	v_add_f64_e32 v[66:67], v[122:123], v[66:67]
	v_fma_f64 v[122:123], v[203:204], s[24:25], v[120:121]
	v_add_f64_e32 v[18:19], v[42:43], v[18:19]
	v_fma_f64 v[42:43], v[203:204], s[24:25], -v[120:121]
	v_fma_f64 v[120:121], v[195:196], s[16:17], v[132:133]
	s_wait_loadcnt 0x2
	v_mul_f64_e32 v[118:119], s[26:27], v[146:147]
	v_mul_f64_e32 v[110:111], s[34:35], v[146:147]
	;; [unrolled: 1-line block ×4, first 2 shown]
	s_delay_alu instid0(VALU_DEP_4) | instskip(NEXT) | instid1(VALU_DEP_4)
	v_fma_f64 v[74:75], v[211:212], s[2:3], -v[118:119]
	v_fma_f64 v[142:143], v[211:212], s[14:15], v[110:111]
	v_fma_f64 v[68:69], v[211:212], s[14:15], -v[110:111]
	v_fma_f64 v[110:111], v[199:200], s[10:11], -v[108:109]
	v_fma_f64 v[106:107], v[211:212], s[24:25], v[92:93]
	v_fma_f64 v[102:103], v[211:212], s[0:1], v[136:137]
	v_fma_f64 v[28:29], v[211:212], s[24:25], -v[92:93]
	v_fma_f64 v[38:39], v[211:212], s[0:1], -v[136:137]
	v_fma_f64 v[136:137], v[182:183], s[16:17], v[245:246]
	v_add_f64_e32 v[24:25], v[74:75], v[24:25]
	v_fma_f64 v[74:75], v[203:204], s[20:21], v[88:89]
	v_mul_f64_e32 v[88:89], s[38:39], v[231:232]
	v_add_f64_e32 v[40:41], v[110:111], v[40:41]
	v_mul_f64_e32 v[110:111], s[28:29], v[70:71]
	v_add_f64_e32 v[76:77], v[142:143], v[76:77]
	v_add_f64_e32 v[80:81], v[102:103], v[80:81]
	;; [unrolled: 1-line block ×3, first 2 shown]
	v_fma_f64 v[68:69], v[195:196], s[10:11], -v[86:87]
	v_add_f64_e32 v[20:21], v[28:29], v[20:21]
	v_fma_f64 v[28:29], v[199:200], s[10:11], v[108:109]
	v_add_f64_e32 v[10:11], v[38:39], v[10:11]
	v_mul_f64_e32 v[102:103], s[30:31], v[205:206]
	v_add_f64_e32 v[140:141], v[136:137], v[140:141]
	s_wait_loadcnt 0x0
	v_fma_f64 v[34:35], v[233:234], s[14:15], -v[34:35]
	v_add_f64_e32 v[24:25], v[64:65], v[24:25]
	v_mul_f64_e32 v[64:65], s[34:35], v[70:71]
	v_add_f64_e32 v[76:77], v[122:123], v[76:77]
	v_add_f64_e32 v[80:81], v[114:115], v[80:81]
	;; [unrolled: 1-line block ×3, first 2 shown]
	v_fma_f64 v[44:45], v[186:187], s[16:17], -v[84:85]
	v_fma_f64 v[122:123], v[184:185], s[10:11], -v[110:111]
	v_add_f64_e32 v[26:27], v[28:29], v[26:27]
	v_add_f64_e32 v[10:11], v[36:37], v[10:11]
	v_fma_f64 v[36:37], v[190:191], s[16:17], v[116:117]
	v_dual_mov_b32 v114, v188 :: v_dual_mov_b32 v115, v189
	v_add_f64_e32 v[34:35], v[138:139], v[34:35]
	v_fma_f64 v[138:139], v[221:222], s[0:1], v[96:97]
	v_mul_f64_e32 v[96:97], s[44:45], v[201:202]
	s_delay_alu instid0(VALU_DEP_4)
	v_mul_f64_e32 v[114:115], s[22:23], v[114:115]
	v_add_f64_e32 v[24:25], v[68:69], v[24:25]
	v_fma_f64 v[68:69], v[184:185], s[16:17], -v[253:254]
	v_add_f64_e32 v[30:31], v[30:31], v[34:35]
	v_fma_f64 v[34:35], v[221:222], s[24:25], v[90:91]
	v_mul_f64_e32 v[90:91], s[40:41], v[176:177]
	v_add_f64_e32 v[82:83], v[138:139], v[82:83]
	v_fma_f64 v[92:93], v[199:200], s[18:19], -v[96:97]
	scratch_load_b64 v[221:222], off, off offset:408 ; 8-byte Folded Reload
	v_add_f64_e32 v[138:139], v[162:163], v[158:159]
	scratch_load_b32 v222, off, off offset:416 ; 4-byte Folded Reload
	v_add_f64_e32 v[8:9], v[8:9], v[30:31]
	v_add_f64_e32 v[22:23], v[34:35], v[22:23]
	v_fma_f64 v[34:35], v[209:210], s[24:25], v[90:91]
	v_fma_f64 v[30:31], v[211:212], s[2:3], v[118:119]
	v_fma_f64 v[104:105], v[209:210], s[24:25], -v[90:91]
	v_mul_f64_e32 v[118:119], s[42:43], v[201:202]
	v_mul_f64_e32 v[90:91], s[38:39], v[227:228]
	v_add_f64_e32 v[82:83], v[106:107], v[82:83]
	v_fma_f64 v[106:107], v[190:191], s[24:25], -v[98:99]
	v_add_f64_e32 v[8:9], v[94:95], v[8:9]
	v_fma_f64 v[94:95], v[203:204], s[18:19], v[100:101]
	v_add_f64_e32 v[0:1], v[34:35], v[0:1]
	v_fma_f64 v[34:35], v[203:204], s[18:19], -v[100:101]
	v_mul_f64_e32 v[100:101], s[30:31], v[70:71]
	scratch_load_b128 v[70:73], off, off offset:504 th:TH_LOAD_LU ; 16-byte Folded Reload
	v_add_f64_e32 v[22:23], v[30:31], v[22:23]
	v_fma_f64 v[30:31], v[199:200], s[18:19], v[96:97]
	v_add_f64_e32 v[32:33], v[104:105], v[32:33]
	v_mul_f64_e32 v[104:105], s[40:41], v[227:228]
	v_fma_f64 v[38:39], v[199:200], s[24:25], v[118:119]
	v_fma_f64 v[134:135], v[199:200], s[24:25], -v[118:119]
	v_fma_f64 v[118:119], v[190:191], s[16:17], -v[116:117]
	;; [unrolled: 1-line block ×3, first 2 shown]
	v_mul_f64_e32 v[116:117], s[22:23], v[197:198]
	v_add_f64_e32 v[40:41], v[106:107], v[40:41]
	v_fma_f64 v[106:107], v[186:187], s[20:21], v[102:103]
	v_add_f64_e32 v[6:7], v[6:7], v[8:9]
	v_fma_f64 v[8:9], v[195:196], s[10:11], v[86:87]
	v_add_f64_e32 v[82:83], v[94:95], v[82:83]
	v_add_f64_e32 v[20:21], v[34:35], v[20:21]
	v_fma_f64 v[34:35], v[190:191], s[24:25], v[98:99]
	v_dual_mov_b32 v98, v188 :: v_dual_mov_b32 v99, v189
	v_add_f64_e32 v[22:23], v[74:75], v[22:23]
	v_fma_f64 v[74:75], v[190:191], s[2:3], v[88:89]
	v_add_f64_e32 v[0:1], v[30:31], v[0:1]
	v_add_f64_e32 v[32:33], v[92:93], v[32:33]
	v_fma_f64 v[92:93], v[195:196], s[2:3], v[90:91]
	v_fma_f64 v[108:109], v[195:196], s[24:25], v[104:105]
	v_fma_f64 v[30:31], v[195:196], s[2:3], -v[90:91]
	v_fma_f64 v[28:29], v[195:196], s[24:25], -v[104:105]
	v_add_f64_e32 v[18:19], v[38:39], v[18:19]
	v_fma_f64 v[38:39], v[195:196], s[16:17], -v[132:133]
	v_add_f64_e32 v[195:196], v[44:45], v[24:25]
	v_add_f64_e32 v[66:67], v[134:135], v[66:67]
	v_mul_f64_e32 v[86:87], s[34:35], v[205:206]
	v_mul_f64_e32 v[88:89], s[28:29], v[197:198]
	v_fma_f64 v[90:91], v[184:185], s[14:15], -v[64:65]
	v_fma_f64 v[104:105], v[184:185], s[20:21], -v[100:101]
	v_fma_f64 v[188:189], v[180:181], s[18:19], v[251:252]
	v_add_f64_e32 v[190:191], v[46:47], v[16:17]
	v_fma_f64 v[16:17], v[180:181], s[18:19], -v[251:252]
	v_add_f64_e32 v[134:135], v[213:214], v[174:175]
	v_add_f64_e32 v[132:133], v[243:244], v[172:173]
	;; [unrolled: 1-line block ×3, first 2 shown]
	v_fma_f64 v[6:7], v[186:187], s[16:17], v[84:85]
	v_mul_f64_e32 v[84:85], s[28:29], v[98:99]
	v_add_f64_e32 v[26:27], v[34:35], v[26:27]
	v_fma_f64 v[34:35], v[186:187], s[20:21], -v[102:103]
	v_add_f64_e32 v[8:9], v[8:9], v[22:23]
	v_fma_f64 v[22:23], v[184:185], s[14:15], v[64:65]
	v_add_f64_e32 v[0:1], v[74:75], v[0:1]
	v_add_f64_e32 v[32:33], v[96:97], v[32:33]
	v_mul_f64_e32 v[96:97], s[26:27], v[98:99]
	v_mul_f64_e32 v[98:99], s[26:27], v[197:198]
	v_add_f64_e32 v[20:21], v[30:31], v[20:21]
	v_add_f64_e32 v[10:11], v[28:29], v[10:11]
	v_fma_f64 v[28:29], v[184:185], s[10:11], v[110:111]
	v_add_f64_e32 v[38:39], v[38:39], v[42:43]
	v_add_f64_e32 v[42:43], v[249:250], v[154:155]
	;; [unrolled: 1-line block ×4, first 2 shown]
	v_fma_f64 v[36:37], v[186:187], s[10:11], -v[112:113]
	v_fma_f64 v[94:95], v[186:187], s[14:15], v[86:87]
	v_fma_f64 v[118:119], v[186:187], s[10:11], v[112:113]
	v_fma_f64 v[64:65], v[186:187], s[14:15], -v[86:87]
	v_fma_f64 v[30:31], v[184:185], s[20:21], v[100:101]
	v_fma_f64 v[86:87], v[182:183], s[18:19], -v[78:79]
	;; [unrolled: 2-line block ×4, first 2 shown]
	v_add_f64_e32 v[40:41], v[104:105], v[40:41]
	v_add_f64_e32 v[24:25], v[68:69], v[4:5]
	v_fma_f64 v[44:45], v[180:181], s[10:11], -v[84:85]
	v_fma_f64 v[205:206], v[180:181], s[10:11], v[84:85]
	v_add_f64_e32 v[168:169], v[6:7], v[8:9]
	v_add_f64_e32 v[6:7], v[170:171], v[164:165]
	;; [unrolled: 1-line block ×4, first 2 shown]
	v_fma_f64 v[46:47], v[180:181], s[2:3], -v[96:97]
	v_fma_f64 v[68:69], v[182:183], s[2:3], v[98:99]
	v_fma_f64 v[197:198], v[180:181], s[2:3], v[96:97]
	v_add_f64_e32 v[203:204], v[34:35], v[10:11]
	v_fma_f64 v[201:202], v[182:183], s[2:3], -v[98:99]
	v_fma_f64 v[180:181], v[180:181], s[0:1], v[114:115]
	v_add_f64_e32 v[142:143], v[2:3], v[42:43]
	v_add_f64_e32 v[66:67], v[122:123], v[66:67]
	;; [unrolled: 1-line block ×3, first 2 shown]
	v_fma_f64 v[182:183], v[182:183], s[0:1], -v[116:117]
	v_add_f64_e32 v[186:187], v[36:37], v[38:39]
	v_add_f64_e32 v[211:212], v[64:65], v[20:21]
	;; [unrolled: 1-line block ×12, first 2 shown]
	s_wait_loadcnt 0x0
	v_add_f64_e32 v[12:13], v[12:13], v[72:73]
	v_add_f64_e32 v[14:15], v[14:15], v[70:71]
	;; [unrolled: 1-line block ×5, first 2 shown]
	s_clause 0x2
	scratch_load_b128 v[80:83], off, off offset:456 th:TH_LOAD_LU
	scratch_load_b64 v[0:1], off, off offset:520 th:TH_LOAD_LU
	scratch_load_b64 v[4:5], off, off offset:544 th:TH_LOAD_LU
	v_mul_lo_u16 v20, v222, 17
	s_delay_alu instid0(VALU_DEP_1) | instskip(SKIP_3) | instid1(VALU_DEP_3)
	v_and_b32_e32 v20, 0xffff, v20
	v_add_f64_e32 v[70:71], v[118:119], v[70:71]
	v_add_f64_e32 v[72:73], v[106:107], v[72:73]
	;; [unrolled: 1-line block ×4, first 2 shown]
	s_delay_alu instid0(VALU_DEP_3) | instskip(NEXT) | instid1(VALU_DEP_3)
	v_add_f64_e32 v[152:153], v[68:69], v[72:73]
	v_add_f64_e32 v[148:149], v[148:149], v[76:77]
	s_wait_loadcnt 0x2
	v_add_f64_e32 v[12:13], v[12:13], v[82:83]
	s_wait_loadcnt 0x0
	v_add_f64_e32 v[126:127], v[0:1], v[4:5]
	s_clause 0x1
	scratch_load_b64 v[0:1], off, off offset:528 th:TH_LOAD_LU
	scratch_load_b64 v[4:5], off, off offset:552 th:TH_LOAD_LU
	v_add_f64_e32 v[14:15], v[14:15], v[80:81]
	s_wait_loadcnt 0x0
	v_add_f64_e32 v[124:125], v[0:1], v[4:5]
	s_clause 0x1
	scratch_load_b64 v[0:1], off, off offset:536 th:TH_LOAD_LU
	scratch_load_b64 v[4:5], off, off offset:560 th:TH_LOAD_LU
	s_wait_loadcnt 0x0
	v_add_f64_e32 v[130:131], v[0:1], v[4:5]
	scratch_load_b64 v[0:1], off, off offset:568 th:TH_LOAD_LU ; 8-byte Folded Reload
	s_wait_loadcnt 0x0
	v_add_f64_e32 v[128:129], v[219:220], v[0:1]
	s_clause 0x1
	scratch_load_b64 v[0:1], off, off offset:576 th:TH_LOAD_LU
	scratch_load_b64 v[4:5], off, off offset:584 th:TH_LOAD_LU
	s_wait_loadcnt 0x0
	v_add_f64_e32 v[122:123], v[0:1], v[4:5]
	s_clause 0x2
	scratch_load_b64 v[0:1], off, off offset:592 th:TH_LOAD_LU
	scratch_load_b64 v[4:5], off, off offset:600 th:TH_LOAD_LU
	;; [unrolled: 1-line block ×3, first 2 shown]
	s_wait_loadcnt 0x1
	v_add_f64_e32 v[120:121], v[0:1], v[4:5]
	scratch_load_b128 v[0:3], off, off offset:440 th:TH_LOAD_LU ; 16-byte Folded Reload
	v_add_f64_e32 v[4:5], v[166:167], v[160:161]
	v_add_f64_e32 v[166:167], v[180:181], v[184:185]
	;; [unrolled: 1-line block ×3, first 2 shown]
	s_wait_loadcnt 0x1
	v_add_f64_e32 v[136:137], v[8:9], v[241:242]
	s_clause 0x1
	scratch_load_b64 v[8:9], off, off offset:472 th:TH_LOAD_LU
	scratch_load_b64 v[10:11], off, off offset:480 th:TH_LOAD_LU
	s_wait_loadcnt 0x2
	v_add_f64_e32 v[2:3], v[12:13], v[2:3]
	v_add_f64_e32 v[0:1], v[14:15], v[0:1]
	;; [unrolled: 1-line block ×4, first 2 shown]
	s_wait_loadcnt 0x0
	v_add_f64_e32 v[10:11], v[8:9], v[10:11]
	s_clause 0x4
	scratch_load_b64 v[8:9], off, off offset:488 th:TH_LOAD_LU
	scratch_load_b32 v181, off, off offset:428
	scratch_load_b32 v180, off, off offset:424
	;; [unrolled: 1-line block ×3, first 2 shown]
	scratch_load_b32 v21, off, off offset:436 th:TH_LOAD_LU
	s_wait_loadcnt 0x4
	v_add_f64_e32 v[8:9], v[8:9], v[215:216]
	s_wait_loadcnt 0x0
	v_lshl_add_u32 v20, v20, 4, v21
	ds_store_b128 v20, v[0:3]
	ds_store_b128 v20, v[156:159] offset:16
	ds_store_b128 v20, v[152:155] offset:32
	;; [unrolled: 1-line block ×16, first 2 shown]
.LBB0_13:
	s_or_b32 exec_lo, exec_lo, s33
	global_wb scope:SCOPE_SE
	s_wait_storecnt_dscnt 0x0
	s_barrier_signal -1
	s_barrier_wait -1
	global_inv scope:SCOPE_SE
	ds_load_b128 v[0:3], v192 offset:4080
	ds_load_b128 v[4:7], v192 offset:8160
	;; [unrolled: 1-line block ×11, first 2 shown]
	s_clause 0x3
	scratch_load_b128 v[92:95], off, off offset:80 th:TH_LOAD_LU
	scratch_load_b128 v[76:79], off, off th:TH_LOAD_LU
	scratch_load_b128 v[82:85], off, off offset:32 th:TH_LOAD_LU
	scratch_load_b128 v[86:89], off, off offset:48 th:TH_LOAD_LU
	s_mov_b32 s0, 0xe8584caa
	s_mov_b32 s1, 0xbfebb67a
	s_mov_b32 s3, 0x3febb67a
	s_wait_alu 0xfffe
	s_mov_b32 s2, s0
	s_mov_b32 s16, 0x134454ff
	s_mov_b32 s17, 0xbfee6f0e
	s_mov_b32 s19, 0x3fee6f0e
	s_wait_alu 0xfffe
	s_mov_b32 s18, s16
	;; [unrolled: 5-line block ×3, first 2 shown]
	scratch_load_b128 v[102:105], off, off offset:144 th:TH_LOAD_LU ; 16-byte Folded Reload
	s_wait_loadcnt_dscnt 0x309
	v_mul_f64_e32 v[24:25], v[78:79], v[6:7]
	v_mul_f64_e32 v[26:27], v[78:79], v[4:5]
	scratch_load_b128 v[78:81], off, off offset:16 th:TH_LOAD_LU ; 16-byte Folded Reload
	s_wait_loadcnt_dscnt 0x207
	v_mul_f64_e32 v[32:33], v[88:89], v[14:15]
	v_mul_f64_e32 v[34:35], v[88:89], v[12:13]
	scratch_load_b128 v[88:91], off, off offset:64 th:TH_LOAD_LU ; 16-byte Folded Reload
	v_mul_f64_e32 v[20:21], v[94:95], v[2:3]
	v_mul_f64_e32 v[22:23], v[94:95], v[0:1]
	scratch_load_b128 v[94:97], off, off offset:96 th:TH_LOAD_LU ; 16-byte Folded Reload
	s_wait_dscnt 0x3
	v_mul_f64_e32 v[46:47], v[84:85], v[130:131]
	v_mul_f64_e32 v[66:67], v[84:85], v[128:129]
	s_wait_loadcnt_dscnt 0x302
	v_mul_f64_e32 v[68:69], v[104:105], v[134:135]
	v_mul_f64_e32 v[72:73], v[104:105], v[132:133]
	v_fma_f64 v[24:25], v[76:77], v[4:5], v[24:25]
	v_fma_f64 v[26:27], v[76:77], v[6:7], -v[26:27]
	ds_load_b128 v[4:7], v192 offset:816
	v_fma_f64 v[32:33], v[86:87], v[12:13], v[32:33]
	v_fma_f64 v[34:35], v[86:87], v[14:15], -v[34:35]
	v_fma_f64 v[20:21], v[92:93], v[0:1], v[20:21]
	v_fma_f64 v[22:23], v[92:93], v[2:3], -v[22:23]
	ds_load_b128 v[0:3], v192
	s_wait_dscnt 0x0
	v_add_f64_e32 v[92:93], v[0:1], v[20:21]
	v_add_f64_e64 v[112:113], v[20:21], -v[24:25]
	s_wait_loadcnt 0x2
	v_mul_f64_e32 v[44:45], v[80:81], v[126:127]
	v_mul_f64_e32 v[64:65], v[80:81], v[124:125]
	s_wait_loadcnt 0x1
	v_mul_f64_e32 v[40:41], v[90:91], v[122:123]
	v_mul_f64_e32 v[42:43], v[90:91], v[120:121]
	;; [unrolled: 3-line block ×3, first 2 shown]
	scratch_load_b128 v[96:99], off, off offset:112 th:TH_LOAD_LU ; 16-byte Folded Reload
	v_fma_f64 v[28:29], v[94:95], v[8:9], v[28:29]
	v_fma_f64 v[30:31], v[94:95], v[10:11], -v[30:31]
	v_add_f64_e64 v[94:95], v[22:23], -v[26:27]
	s_delay_alu instid0(VALU_DEP_3) | instskip(SKIP_1) | instid1(VALU_DEP_2)
	v_add_f64_e32 v[76:77], v[28:29], v[32:33]
	v_add_f64_e64 v[114:115], v[28:29], -v[32:33]
	v_fma_f64 v[76:77], v[76:77], -0.5, v[4:5]
	s_wait_loadcnt 0x0
	v_mul_f64_e32 v[36:37], v[98:99], v[18:19]
	v_mul_f64_e32 v[38:39], v[98:99], v[16:17]
	scratch_load_b128 v[98:101], off, off offset:128 th:TH_LOAD_LU ; 16-byte Folded Reload
	ds_load_b128 v[8:11], v192 offset:1632
	ds_load_b128 v[12:15], v192 offset:2448
	global_wb scope:SCOPE_SE
	s_wait_loadcnt_dscnt 0x0
	s_barrier_signal -1
	s_barrier_wait -1
	global_inv scope:SCOPE_SE
	v_fma_f64 v[16:17], v[96:97], v[16:17], v[36:37]
	v_fma_f64 v[18:19], v[96:97], v[18:19], -v[38:39]
	v_fma_f64 v[36:37], v[88:89], v[120:121], v[40:41]
	v_fma_f64 v[38:39], v[88:89], v[122:123], -v[42:43]
	v_fma_f64 v[40:41], v[78:79], v[124:125], v[44:45]
	v_fma_f64 v[42:43], v[82:83], v[128:129], v[46:47]
	v_fma_f64 v[44:45], v[78:79], v[126:127], -v[64:65]
	v_fma_f64 v[46:47], v[82:83], v[130:131], -v[66:67]
	v_fma_f64 v[64:65], v[102:103], v[132:133], v[68:69]
	v_fma_f64 v[68:69], v[102:103], v[134:135], -v[72:73]
	v_add_f64_e32 v[72:73], v[20:21], v[24:25]
	v_add_f64_e32 v[78:79], v[30:31], v[34:35]
	;; [unrolled: 1-line block ×6, first 2 shown]
	v_add_f64_e64 v[116:117], v[18:19], -v[38:39]
	v_add_f64_e64 v[118:119], v[16:17], -v[36:37]
	v_add_f64_e32 v[84:85], v[40:41], v[42:43]
	v_add_f64_e32 v[104:105], v[12:13], v[40:41]
	;; [unrolled: 1-line block ×3, first 2 shown]
	v_add_f64_e64 v[122:123], v[40:41], -v[42:43]
	v_fma_f64 v[72:73], v[72:73], -0.5, v[0:1]
	v_add_f64_e32 v[0:1], v[92:93], v[24:25]
	v_fma_f64 v[78:79], v[78:79], -0.5, v[6:7]
	v_add_f64_e32 v[4:5], v[96:97], v[32:33]
	v_add_f64_e32 v[86:87], v[44:45], v[46:47]
	;; [unrolled: 1-line block ×3, first 2 shown]
	v_add_f64_e64 v[120:121], v[44:45], -v[46:47]
	v_add_f64_e32 v[110:111], v[142:143], v[68:69]
	v_fma_f64 v[80:81], v[80:81], -0.5, v[8:9]
	v_fma_f64 v[82:83], v[82:83], -0.5, v[10:11]
	v_add_f64_e32 v[10:11], v[102:103], v[38:39]
	v_fma_f64 v[84:85], v[84:85], -0.5, v[12:13]
	v_add_f64_e32 v[12:13], v[104:105], v[42:43]
	v_fma_f64 v[20:21], v[94:95], s[0:1], v[72:73]
	v_fma_f64 v[24:25], v[94:95], s[2:3], v[72:73]
	v_fma_f64 v[86:87], v[86:87], -0.5, v[14:15]
	v_add_f64_e32 v[14:15], v[106:107], v[46:47]
	v_fma_f64 v[40:41], v[116:117], s[2:3], v[80:81]
	v_fma_f64 v[38:39], v[118:119], s[2:3], v[82:83]
	;; [unrolled: 1-line block ×7, first 2 shown]
	v_mul_f64_e32 v[70:71], v[100:101], v[138:139]
	v_mul_f64_e32 v[74:75], v[100:101], v[136:137]
	v_add_f64_e32 v[100:101], v[8:9], v[16:17]
	s_delay_alu instid0(VALU_DEP_3) | instskip(NEXT) | instid1(VALU_DEP_3)
	v_fma_f64 v[66:67], v[98:99], v[136:137], v[70:71]
	v_fma_f64 v[70:71], v[98:99], v[138:139], -v[74:75]
	v_add_f64_e32 v[74:75], v[22:23], v[26:27]
	v_add_f64_e32 v[22:23], v[2:3], v[22:23]
	v_add_f64_e32 v[98:99], v[6:7], v[30:31]
	v_add_f64_e64 v[30:31], v[30:31], -v[34:35]
	v_add_f64_e32 v[8:9], v[100:101], v[36:37]
	v_fma_f64 v[36:37], v[116:117], s[0:1], v[80:81]
	v_add_f64_e32 v[88:89], v[64:65], v[66:67]
	v_add_f64_e32 v[90:91], v[68:69], v[70:71]
	v_add_f64_e64 v[64:65], v[64:65], -v[66:67]
	v_fma_f64 v[74:75], v[74:75], -0.5, v[2:3]
	v_add_f64_e32 v[2:3], v[22:23], v[26:27]
	v_add_f64_e32 v[6:7], v[98:99], v[34:35]
	v_fma_f64 v[28:29], v[30:31], s[0:1], v[76:77]
	v_fma_f64 v[32:33], v[30:31], s[2:3], v[76:77]
	;; [unrolled: 1-line block ×4, first 2 shown]
	v_add_f64_e64 v[68:69], v[68:69], -v[70:71]
	v_add_f64_e32 v[16:17], v[108:109], v[66:67]
	v_add_f64_e32 v[18:19], v[110:111], v[70:71]
	v_fma_f64 v[88:89], v[88:89], -0.5, v[140:141]
	v_fma_f64 v[90:91], v[90:91], -0.5, v[142:143]
	v_fma_f64 v[22:23], v[112:113], s[2:3], v[74:75]
	v_fma_f64 v[26:27], v[112:113], s[0:1], v[74:75]
	s_delay_alu instid0(VALU_DEP_4) | instskip(NEXT) | instid1(VALU_DEP_4)
	v_fma_f64 v[124:125], v[68:69], s[0:1], v[88:89]
	v_fma_f64 v[126:127], v[64:65], s[2:3], v[90:91]
	;; [unrolled: 1-line block ×3, first 2 shown]
	scratch_load_b32 v64, off, off offset:400 th:TH_LOAD_LU ; 4-byte Folded Reload
	v_fma_f64 v[128:129], v[68:69], s[2:3], v[88:89]
	s_wait_loadcnt 0x0
	ds_store_b128 v64, v[0:3]
	ds_store_b128 v64, v[20:23] offset:272
	ds_store_b128 v64, v[24:27] offset:544
	scratch_load_b32 v0, off, off offset:396 th:TH_LOAD_LU ; 4-byte Folded Reload
	s_wait_loadcnt 0x0
	ds_store_b128 v0, v[4:7]
	ds_store_b128 v0, v[28:31] offset:272
	ds_store_b128 v0, v[32:35] offset:544
	scratch_load_b32 v0, off, off offset:392 th:TH_LOAD_LU ; 4-byte Folded Reload
	;; [unrolled: 5-line block ×4, first 2 shown]
	s_wait_loadcnt 0x0
	ds_store_b128 v0, v[16:19]
	ds_store_b128 v0, v[124:127] offset:272
	ds_store_b128 v0, v[128:131] offset:544
	global_wb scope:SCOPE_SE
	s_wait_dscnt 0x0
	s_barrier_signal -1
	s_barrier_wait -1
	global_inv scope:SCOPE_SE
	ds_load_b128 v[0:3], v192 offset:2448
	ds_load_b128 v[4:7], v192 offset:4896
	;; [unrolled: 1-line block ×13, first 2 shown]
	s_clause 0x3
	scratch_load_b128 v[116:119], off, off offset:208 th:TH_LOAD_LU
	scratch_load_b128 v[112:115], off, off offset:192 th:TH_LOAD_LU
	;; [unrolled: 1-line block ×4, first 2 shown]
	s_wait_dscnt 0xc
	v_mul_f64_e32 v[64:65], v[62:63], v[2:3]
	s_wait_dscnt 0xb
	v_mul_f64_e32 v[68:69], v[58:59], v[6:7]
	;; [unrolled: 2-line block ×3, first 2 shown]
	v_mul_f64_e32 v[72:73], v[58:59], v[4:5]
	v_mul_f64_e32 v[78:79], v[54:55], v[8:9]
	v_mul_f64_e32 v[66:67], v[62:63], v[0:1]
	s_wait_dscnt 0x9
	v_mul_f64_e32 v[74:75], v[50:51], v[14:15]
	v_mul_f64_e32 v[76:77], v[50:51], v[12:13]
	s_wait_dscnt 0x7
	v_mul_f64_e32 v[82:83], v[58:59], v[22:23]
	s_wait_dscnt 0x6
	v_mul_f64_e32 v[84:85], v[54:55], v[26:27]
	v_mul_f64_e32 v[58:59], v[58:59], v[20:21]
	;; [unrolled: 1-line block ×5, first 2 shown]
	s_wait_dscnt 0x5
	v_mul_f64_e32 v[86:87], v[50:51], v[30:31]
	v_mul_f64_e32 v[50:51], v[50:51], v[28:29]
	v_fma_f64 v[64:65], v[60:61], v[0:1], v[64:65]
	v_fma_f64 v[68:69], v[56:57], v[4:5], v[68:69]
	;; [unrolled: 1-line block ×3, first 2 shown]
	v_fma_f64 v[70:71], v[56:57], v[6:7], -v[72:73]
	v_fma_f64 v[10:11], v[52:53], v[10:11], -v[78:79]
	;; [unrolled: 1-line block ×3, first 2 shown]
	v_fma_f64 v[12:13], v[48:49], v[12:13], v[74:75]
	v_fma_f64 v[14:15], v[48:49], v[14:15], -v[76:77]
	v_fma_f64 v[20:21], v[56:57], v[20:21], v[82:83]
	v_fma_f64 v[24:25], v[52:53], v[24:25], v[84:85]
	v_fma_f64 v[22:23], v[56:57], v[22:23], -v[58:59]
	v_fma_f64 v[26:27], v[52:53], v[26:27], -v[54:55]
	v_fma_f64 v[16:17], v[60:61], v[16:17], v[80:81]
	v_fma_f64 v[18:19], v[60:61], v[18:19], -v[62:63]
	v_fma_f64 v[28:29], v[48:49], v[28:29], v[86:87]
	v_fma_f64 v[30:31], v[48:49], v[30:31], -v[50:51]
	ds_load_b128 v[0:3], v192
	ds_load_b128 v[4:7], v192 offset:816
	global_wb scope:SCOPE_SE
	s_wait_loadcnt_dscnt 0x0
	s_barrier_signal -1
	s_barrier_wait -1
	global_inv scope:SCOPE_SE
	v_add_f64_e32 v[54:55], v[0:1], v[64:65]
	v_add_f64_e64 v[74:75], v[64:65], -v[68:69]
	v_add_f64_e32 v[52:53], v[68:69], v[8:9]
	v_add_f64_e64 v[82:83], v[68:69], -v[64:65]
	;; [unrolled: 2-line block ×3, first 2 shown]
	v_add_f64_e32 v[56:57], v[64:65], v[12:13]
	v_add_f64_e32 v[72:73], v[66:67], v[14:15]
	v_add_f64_e64 v[58:59], v[66:67], -v[14:15]
	v_add_f64_e32 v[76:77], v[20:21], v[24:25]
	v_add_f64_e64 v[78:79], v[12:13], -v[8:9]
	;; [unrolled: 2-line block ×3, first 2 shown]
	v_add_f64_e64 v[64:65], v[64:65], -v[12:13]
	v_add_f64_e32 v[80:81], v[16:17], v[28:29]
	v_add_f64_e64 v[124:125], v[20:21], -v[24:25]
	v_add_f64_e64 v[130:131], v[18:19], -v[22:23]
	v_add_f64_e32 v[54:55], v[54:55], v[68:69]
	v_fma_f64 v[52:53], v[52:53], -0.5, v[0:1]
	v_fma_f64 v[60:61], v[60:61], -0.5, v[2:3]
	;; [unrolled: 1-line block ×3, first 2 shown]
	v_add_f64_e64 v[56:57], v[30:31], -v[26:27]
	v_fma_f64 v[76:77], v[76:77], -0.5, v[4:5]
	v_fma_f64 v[84:85], v[84:85], -0.5, v[6:7]
	s_delay_alu instid0(VALU_DEP_3)
	v_add_f64_e32 v[56:57], v[130:131], v[56:57]
	v_mul_f64_e32 v[88:89], v[118:119], v[38:39]
	v_mul_f64_e32 v[92:93], v[114:115], v[42:43]
	;; [unrolled: 1-line block ×8, first 2 shown]
	v_add_f64_e64 v[110:111], v[18:19], -v[30:31]
	v_add_f64_e64 v[114:115], v[16:17], -v[20:21]
	;; [unrolled: 1-line block ×4, first 2 shown]
	v_fma_f64 v[36:37], v[116:117], v[36:37], v[88:89]
	v_fma_f64 v[40:41], v[112:113], v[40:41], v[92:93]
	;; [unrolled: 1-line block ×3, first 2 shown]
	v_fma_f64 v[42:43], v[112:113], v[42:43], -v[96:97]
	v_fma_f64 v[46:47], v[108:109], v[46:47], -v[100:101]
	;; [unrolled: 1-line block ×3, first 2 shown]
	v_fma_f64 v[48:49], v[104:105], v[120:121], v[98:99]
	v_fma_f64 v[50:51], v[104:105], v[122:123], -v[102:103]
	v_add_f64_e32 v[88:89], v[18:19], v[30:31]
	v_add_f64_e32 v[90:91], v[2:3], v[66:67]
	;; [unrolled: 1-line block ×4, first 2 shown]
	v_add_f64_e64 v[96:97], v[68:69], -v[8:9]
	v_add_f64_e64 v[102:103], v[66:67], -v[70:71]
	;; [unrolled: 1-line block ×3, first 2 shown]
	v_fma_f64 v[2:3], v[72:73], -0.5, v[2:3]
	v_add_f64_e64 v[16:17], v[16:17], -v[28:29]
	v_add_f64_e64 v[66:67], v[70:71], -v[66:67]
	;; [unrolled: 1-line block ×3, first 2 shown]
	v_fma_f64 v[4:5], v[80:81], -0.5, v[4:5]
	v_add_f64_e64 v[18:19], v[22:23], -v[18:19]
	v_add_f64_e64 v[72:73], v[26:27], -v[30:31]
	v_add_f64_e32 v[68:69], v[74:75], v[78:79]
	v_add_f64_e32 v[74:75], v[82:83], v[86:87]
	v_fma_f64 v[82:83], v[58:59], s[16:17], v[52:53]
	v_add_f64_e64 v[116:117], v[28:29], -v[24:25]
	v_add_f64_e64 v[120:121], v[24:25], -v[28:29]
	v_fma_f64 v[86:87], v[62:63], s[18:19], v[0:1]
	v_fma_f64 v[52:53], v[58:59], s[18:19], v[52:53]
	;; [unrolled: 1-line block ×3, first 2 shown]
	v_add_f64_e32 v[8:9], v[54:55], v[8:9]
	v_add_f64_e32 v[126:127], v[32:33], v[36:37]
	v_add_f64_e64 v[134:135], v[36:37], -v[40:41]
	v_add_f64_e32 v[92:93], v[40:41], v[44:45]
	v_add_f64_e32 v[98:99], v[42:43], v[46:47]
	;; [unrolled: 1-line block ×5, first 2 shown]
	v_fma_f64 v[6:7], v[88:89], -0.5, v[6:7]
	v_add_f64_e64 v[132:133], v[38:39], -v[50:51]
	v_add_f64_e64 v[136:137], v[36:37], -v[48:49]
	;; [unrolled: 1-line block ×3, first 2 shown]
	v_add_f64_e32 v[70:71], v[90:91], v[70:71]
	v_add_f64_e64 v[138:139], v[38:39], -v[42:43]
	v_add_f64_e64 v[38:39], v[42:43], -v[38:39]
	v_add_f64_e32 v[20:21], v[108:109], v[20:21]
	v_add_f64_e32 v[22:23], v[122:123], v[22:23]
	v_fma_f64 v[90:91], v[64:65], s[18:19], v[60:61]
	v_add_f64_e64 v[36:37], v[40:41], -v[36:37]
	v_add_f64_e64 v[142:143], v[46:47], -v[50:51]
	v_add_f64_e32 v[78:79], v[102:103], v[104:105]
	v_fma_f64 v[102:103], v[96:97], s[16:17], v[2:3]
	v_fma_f64 v[2:3], v[96:97], s[18:19], v[2:3]
	;; [unrolled: 1-line block ×5, first 2 shown]
	v_add_f64_e32 v[66:67], v[66:67], v[106:107]
	v_fma_f64 v[76:77], v[110:111], s[18:19], v[76:77]
	v_fma_f64 v[106:107], v[112:113], s[18:19], v[4:5]
	;; [unrolled: 1-line block ×4, first 2 shown]
	v_add_f64_e64 v[88:89], v[48:49], -v[44:45]
	v_add_f64_e64 v[140:141], v[50:51], -v[46:47]
	v_add_f64_e32 v[72:73], v[18:19], v[72:73]
	v_add_f64_e32 v[114:115], v[114:115], v[116:117]
	;; [unrolled: 1-line block ×3, first 2 shown]
	v_fma_f64 v[92:93], v[92:93], -0.5, v[32:33]
	v_fma_f64 v[98:99], v[98:99], -0.5, v[34:35]
	v_add_f64_e32 v[42:43], v[128:129], v[42:43]
	v_fma_f64 v[32:33], v[94:95], -0.5, v[32:33]
	v_add_f64_e64 v[94:95], v[40:41], -v[44:45]
	v_fma_f64 v[34:35], v[100:101], -0.5, v[34:35]
	v_add_f64_e32 v[40:41], v[126:127], v[40:41]
	v_add_f64_e64 v[100:101], v[44:45], -v[48:49]
	v_fma_f64 v[122:123], v[124:125], s[16:17], v[6:7]
	v_fma_f64 v[6:7], v[124:125], s[18:19], v[6:7]
	v_add_f64_e32 v[10:11], v[70:71], v[10:11]
	v_add_f64_e32 v[18:19], v[20:21], v[24:25]
	;; [unrolled: 1-line block ×3, first 2 shown]
	v_fma_f64 v[26:27], v[62:63], s[10:11], v[82:83]
	v_add_f64_e32 v[120:121], v[38:39], v[142:143]
	v_fma_f64 v[38:39], v[58:59], s[10:11], v[86:87]
	v_fma_f64 v[54:55], v[112:113], s[10:11], v[104:105]
	;; [unrolled: 1-line block ×3, first 2 shown]
	v_add_f64_e32 v[88:89], v[134:135], v[88:89]
	v_add_f64_e32 v[118:119], v[138:139], v[140:141]
	v_fma_f64 v[126:127], v[132:133], s[16:17], v[92:93]
	v_fma_f64 v[92:93], v[132:133], s[18:19], v[92:93]
	;; [unrolled: 1-line block ×8, first 2 shown]
	v_add_f64_e32 v[24:25], v[42:43], v[46:47]
	s_wait_alu 0xfffe
	v_fma_f64 v[42:43], v[96:97], s[14:15], v[90:91]
	v_add_f64_e32 v[22:23], v[40:41], v[44:45]
	v_fma_f64 v[46:47], v[64:65], s[14:15], v[102:103]
	v_add_f64_e32 v[100:101], v[36:37], v[100:101]
	v_fma_f64 v[36:37], v[62:63], s[14:15], v[52:53]
	v_fma_f64 v[40:41], v[58:59], s[14:15], v[0:1]
	;; [unrolled: 1-line block ×10, first 2 shown]
	v_add_f64_e32 v[0:1], v[8:9], v[12:13]
	v_add_f64_e32 v[2:3], v[10:11], v[14:15]
	;; [unrolled: 1-line block ×4, first 2 shown]
	v_fma_f64 v[84:85], v[80:81], s[10:11], v[126:127]
	v_fma_f64 v[80:81], v[80:81], s[14:15], v[92:93]
	;; [unrolled: 1-line block ×8, first 2 shown]
	s_mov_b32 s10, 0x372fe950
	s_mov_b32 s11, 0x3fd3c6ef
	v_add_f64_e32 v[8:9], v[22:23], v[48:49]
	s_wait_alu 0xfffe
	v_fma_f64 v[12:13], v[68:69], s[10:11], v[26:27]
	v_fma_f64 v[14:15], v[78:79], s[10:11], v[42:43]
	;; [unrolled: 1-line block ×4, first 2 shown]
	v_add_f64_e32 v[10:11], v[24:25], v[50:51]
	v_fma_f64 v[24:25], v[74:75], s[10:11], v[40:41]
	v_fma_f64 v[26:27], v[66:67], s[10:11], v[52:53]
	;; [unrolled: 1-line block ×20, first 2 shown]
	ds_store_b128 v192, v[0:3]
	ds_store_b128 v192, v[12:15] offset:816
	ds_store_b128 v192, v[20:23] offset:1632
	ds_store_b128 v192, v[24:27] offset:2448
	ds_store_b128 v192, v[16:19] offset:3264
	ds_store_b128 v192, v[4:7] offset:4080
	ds_store_b128 v192, v[28:31] offset:4896
	ds_store_b128 v192, v[36:39] offset:5712
	ds_store_b128 v192, v[40:43] offset:6528
	ds_store_b128 v192, v[32:35] offset:7344
	ds_store_b128 v194, v[8:11] offset:8160
	ds_store_b128 v194, v[44:47] offset:8976
	ds_store_b128 v194, v[52:55] offset:9792
	ds_store_b128 v194, v[56:59] offset:10608
	ds_store_b128 v194, v[48:51] offset:11424
	global_wb scope:SCOPE_SE
	s_wait_dscnt 0x0
	s_barrier_signal -1
	s_barrier_wait -1
	global_inv scope:SCOPE_SE
	ds_load_b128 v[0:3], v192 offset:4080
	ds_load_b128 v[4:7], v192 offset:8160
	;; [unrolled: 1-line block ×11, first 2 shown]
	s_clause 0x5
	scratch_load_b128 v[88:91], off, off offset:240 th:TH_LOAD_LU
	scratch_load_b128 v[84:87], off, off offset:224 th:TH_LOAD_LU
	;; [unrolled: 1-line block ×6, first 2 shown]
	s_wait_loadcnt_dscnt 0x50a
	v_mul_f64_e32 v[44:45], v[90:91], v[2:3]
	v_mul_f64_e32 v[46:47], v[90:91], v[0:1]
	scratch_load_b128 v[90:93], off, off offset:256 th:TH_LOAD_LU ; 16-byte Folded Reload
	s_wait_loadcnt_dscnt 0x408
	v_mul_f64_e32 v[52:53], v[96:97], v[10:11]
	v_mul_f64_e32 v[54:55], v[96:97], v[8:9]
	scratch_load_b128 v[96:99], off, off offset:288 th:TH_LOAD_LU ; 16-byte Folded Reload
	;; [unrolled: 4-line block ×4, first 2 shown]
	v_mul_f64_e32 v[48:49], v[86:87], v[6:7]
	v_mul_f64_e32 v[50:51], v[86:87], v[4:5]
	s_wait_loadcnt_dscnt 0x402
	v_mul_f64_e32 v[76:77], v[114:115], v[34:35]
	v_mul_f64_e32 v[80:81], v[114:115], v[32:33]
	v_fma_f64 v[44:45], v[88:89], v[0:1], v[44:45]
	v_fma_f64 v[46:47], v[88:89], v[2:3], -v[46:47]
	ds_load_b128 v[0:3], v192
	v_fma_f64 v[52:53], v[94:95], v[8:9], v[52:53]
	v_fma_f64 v[54:55], v[94:95], v[10:11], -v[54:55]
	v_fma_f64 v[16:17], v[100:101], v[16:17], v[60:61]
	v_fma_f64 v[18:19], v[100:101], v[18:19], -v[62:63]
	;; [unrolled: 2-line block ×4, first 2 shown]
	ds_load_b128 v[4:7], v192 offset:816
	v_fma_f64 v[32:33], v[112:113], v[32:33], v[76:77]
	v_fma_f64 v[34:35], v[112:113], v[34:35], -v[80:81]
	s_wait_dscnt 0x1
	v_add_f64_e32 v[80:81], v[0:1], v[44:45]
	s_wait_dscnt 0x0
	v_add_f64_e32 v[84:85], v[4:5], v[52:53]
	v_add_f64_e32 v[86:87], v[6:7], v[54:55]
	;; [unrolled: 1-line block ×4, first 2 shown]
	v_add_f64_e64 v[44:45], v[44:45], -v[48:49]
	s_delay_alu instid0(VALU_DEP_3) | instskip(NEXT) | instid1(VALU_DEP_3)
	v_fma_f64 v[60:61], v[60:61], -0.5, v[0:1]
	v_fma_f64 v[62:63], v[62:63], -0.5, v[2:3]
	v_add_f64_e32 v[0:1], v[80:81], v[48:49]
	s_wait_loadcnt 0x3
	v_mul_f64_e32 v[56:57], v[92:93], v[14:15]
	v_mul_f64_e32 v[58:59], v[92:93], v[12:13]
	s_wait_loadcnt 0x2
	v_mul_f64_e32 v[64:65], v[98:99], v[22:23]
	v_mul_f64_e32 v[66:67], v[98:99], v[20:21]
	v_add_f64_e32 v[98:99], v[42:43], v[34:35]
	s_wait_loadcnt 0x1
	v_mul_f64_e32 v[70:71], v[104:105], v[30:31]
	v_mul_f64_e32 v[74:75], v[104:105], v[28:29]
	s_wait_loadcnt 0x0
	v_mul_f64_e32 v[78:79], v[110:111], v[38:39]
	v_mul_f64_e32 v[82:83], v[110:111], v[36:37]
	v_fma_f64 v[56:57], v[90:91], v[12:13], v[56:57]
	v_fma_f64 v[58:59], v[90:91], v[14:15], -v[58:59]
	ds_load_b128 v[8:11], v192 offset:1632
	ds_load_b128 v[12:15], v192 offset:2448
	v_fma_f64 v[20:21], v[96:97], v[20:21], v[64:65]
	v_fma_f64 v[22:23], v[96:97], v[22:23], -v[66:67]
	v_add_f64_e32 v[96:97], v[40:41], v[32:33]
	v_fma_f64 v[28:29], v[102:103], v[28:29], v[70:71]
	v_fma_f64 v[30:31], v[102:103], v[30:31], -v[74:75]
	v_fma_f64 v[36:37], v[108:109], v[36:37], v[78:79]
	v_fma_f64 v[38:39], v[108:109], v[38:39], -v[82:83]
	v_add_f64_e64 v[82:83], v[46:47], -v[50:51]
	v_add_f64_e32 v[46:47], v[2:3], v[46:47]
	s_wait_dscnt 0x1
	v_add_f64_e32 v[88:89], v[8:9], v[16:17]
	s_wait_dscnt 0x0
	v_add_f64_e32 v[92:93], v[12:13], v[24:25]
	v_add_f64_e32 v[94:95], v[14:15], v[26:27]
	;; [unrolled: 1-line block ×5, first 2 shown]
	v_add_f64_e64 v[54:55], v[54:55], -v[58:59]
	v_add_f64_e32 v[68:69], v[16:17], v[20:21]
	v_add_f64_e32 v[70:71], v[18:19], v[22:23]
	v_add_f64_e64 v[52:53], v[52:53], -v[56:57]
	v_add_f64_e32 v[72:73], v[24:25], v[28:29]
	v_add_f64_e32 v[74:75], v[26:27], v[30:31]
	;; [unrolled: 3-line block ×3, first 2 shown]
	v_add_f64_e64 v[102:103], v[16:17], -v[20:21]
	v_add_f64_e64 v[104:105], v[26:27], -v[30:31]
	;; [unrolled: 1-line block ×5, first 2 shown]
	v_add_f64_e32 v[2:3], v[46:47], v[50:51]
	v_fma_f64 v[24:25], v[82:83], s[2:3], v[60:61]
	v_fma_f64 v[26:27], v[44:45], s[0:1], v[62:63]
	v_add_f64_e32 v[16:17], v[96:97], v[36:37]
	v_add_f64_e32 v[18:19], v[98:99], v[38:39]
	v_fma_f64 v[64:65], v[64:65], -0.5, v[4:5]
	v_fma_f64 v[66:67], v[66:67], -0.5, v[6:7]
	v_add_f64_e32 v[4:5], v[84:85], v[56:57]
	v_fma_f64 v[68:69], v[68:69], -0.5, v[8:9]
	v_fma_f64 v[70:71], v[70:71], -0.5, v[10:11]
	v_add_f64_e32 v[6:7], v[86:87], v[58:59]
	v_fma_f64 v[72:73], v[72:73], -0.5, v[12:13]
	v_fma_f64 v[74:75], v[74:75], -0.5, v[14:15]
	v_add_f64_e32 v[12:13], v[92:93], v[28:29]
	v_fma_f64 v[76:77], v[76:77], -0.5, v[40:41]
	v_fma_f64 v[78:79], v[78:79], -0.5, v[42:43]
	v_add_f64_e32 v[14:15], v[94:95], v[30:31]
	v_add_f64_e32 v[8:9], v[88:89], v[20:21]
	;; [unrolled: 1-line block ×3, first 2 shown]
	v_fma_f64 v[20:21], v[82:83], s[0:1], v[60:61]
	v_fma_f64 v[22:23], v[44:45], s[2:3], v[62:63]
	;; [unrolled: 1-line block ×18, first 2 shown]
	ds_store_b128 v193, v[0:3]
	ds_store_b128 v193, v[4:7] offset:816
	ds_store_b128 v193, v[24:27] offset:8160
	;; [unrolled: 1-line block ×14, first 2 shown]
	global_wb scope:SCOPE_SE
	s_wait_dscnt 0x0
	s_barrier_signal -1
	s_barrier_wait -1
	global_inv scope:SCOPE_SE
	s_and_b32 exec_lo, exec_lo, vcc_lo
	s_cbranch_execz .LBB0_15
; %bb.14:
	scratch_load_b32 v0, off, off offset:404 th:TH_LOAD_LU ; 4-byte Folded Reload
	global_load_b128 v[1:4], v255, s[8:9]
	ds_load_b128 v[5:8], v193
	s_mov_b32 s0, 0x156ac015
	s_mov_b32 s1, 0x3f556ac0
	s_mul_u64 s[2:3], s[4:5], 0x2d0
	s_wait_loadcnt 0x1
	v_lshl_add_u32 v0, v223, 4, v0
	ds_load_b128 v[9:12], v0 offset:720
	s_wait_loadcnt_dscnt 0x1
	v_mul_f64_e32 v[13:14], v[7:8], v[3:4]
	v_mul_f64_e32 v[3:4], v[5:6], v[3:4]
	s_delay_alu instid0(VALU_DEP_2) | instskip(NEXT) | instid1(VALU_DEP_2)
	v_fma_f64 v[5:6], v[5:6], v[1:2], v[13:14]
	v_fma_f64 v[3:4], v[1:2], v[7:8], -v[3:4]
	v_mad_co_u64_u32 v[7:8], null, s6, v221, 0
	v_mad_co_u64_u32 v[13:14], null, s4, v222, 0
	s_wait_alu 0xfffe
	s_delay_alu instid0(VALU_DEP_4) | instskip(NEXT) | instid1(VALU_DEP_4)
	v_mul_f64_e32 v[1:2], s[0:1], v[5:6]
	v_mul_f64_e32 v[3:4], s[0:1], v[3:4]
	s_delay_alu instid0(VALU_DEP_3) | instskip(NEXT) | instid1(VALU_DEP_1)
	v_dual_mov_b32 v5, v8 :: v_dual_mov_b32 v6, v14
	v_mad_co_u64_u32 v[14:15], null, s7, v221, v[5:6]
	v_mad_co_u64_u32 v[5:6], null, s5, v222, v[6:7]
	s_delay_alu instid0(VALU_DEP_2) | instskip(NEXT) | instid1(VALU_DEP_2)
	v_mov_b32_e32 v8, v14
	v_mov_b32_e32 v14, v5
	s_delay_alu instid0(VALU_DEP_2) | instskip(NEXT) | instid1(VALU_DEP_2)
	v_lshlrev_b64_e32 v[5:6], 4, v[7:8]
	v_lshlrev_b64_e32 v[7:8], 4, v[13:14]
	s_delay_alu instid0(VALU_DEP_2) | instskip(NEXT) | instid1(VALU_DEP_3)
	v_add_co_u32 v5, vcc_lo, s12, v5
	v_add_co_ci_u32_e32 v6, vcc_lo, s13, v6, vcc_lo
	s_delay_alu instid0(VALU_DEP_2) | instskip(SKIP_1) | instid1(VALU_DEP_2)
	v_add_co_u32 v5, vcc_lo, v5, v7
	s_wait_alu 0xfffd
	v_add_co_ci_u32_e32 v6, vcc_lo, v6, v8, vcc_lo
	s_delay_alu instid0(VALU_DEP_2)
	v_add_co_u32 v13, vcc_lo, v5, s2
	global_store_b128 v[5:6], v[1:4], off
	global_load_b128 v[1:4], v255, s[8:9] offset:720
	s_wait_alu 0xfffd
	v_add_co_ci_u32_e32 v14, vcc_lo, s3, v6, vcc_lo
	s_wait_loadcnt_dscnt 0x0
	v_mul_f64_e32 v[7:8], v[11:12], v[3:4]
	v_mul_f64_e32 v[3:4], v[9:10], v[3:4]
	s_delay_alu instid0(VALU_DEP_2) | instskip(NEXT) | instid1(VALU_DEP_2)
	v_fma_f64 v[7:8], v[9:10], v[1:2], v[7:8]
	v_fma_f64 v[3:4], v[1:2], v[11:12], -v[3:4]
	s_delay_alu instid0(VALU_DEP_2) | instskip(NEXT) | instid1(VALU_DEP_2)
	v_mul_f64_e32 v[1:2], s[0:1], v[7:8]
	v_mul_f64_e32 v[3:4], s[0:1], v[3:4]
	global_store_b128 v[13:14], v[1:4], off
	global_load_b128 v[1:4], v255, s[8:9] offset:1440
	ds_load_b128 v[5:8], v0 offset:1440
	ds_load_b128 v[9:12], v0 offset:2160
	s_wait_loadcnt_dscnt 0x1
	v_mul_f64_e32 v[15:16], v[7:8], v[3:4]
	v_mul_f64_e32 v[3:4], v[5:6], v[3:4]
	s_delay_alu instid0(VALU_DEP_2) | instskip(NEXT) | instid1(VALU_DEP_2)
	v_fma_f64 v[5:6], v[5:6], v[1:2], v[15:16]
	v_fma_f64 v[3:4], v[1:2], v[7:8], -v[3:4]
	s_delay_alu instid0(VALU_DEP_2) | instskip(NEXT) | instid1(VALU_DEP_2)
	v_mul_f64_e32 v[1:2], s[0:1], v[5:6]
	v_mul_f64_e32 v[3:4], s[0:1], v[3:4]
	v_add_co_u32 v5, vcc_lo, v13, s2
	s_wait_alu 0xfffd
	v_add_co_ci_u32_e32 v6, vcc_lo, s3, v14, vcc_lo
	s_delay_alu instid0(VALU_DEP_2) | instskip(SKIP_1) | instid1(VALU_DEP_2)
	v_add_co_u32 v13, vcc_lo, v5, s2
	s_wait_alu 0xfffd
	v_add_co_ci_u32_e32 v14, vcc_lo, s3, v6, vcc_lo
	global_store_b128 v[5:6], v[1:4], off
	global_load_b128 v[1:4], v255, s[8:9] offset:2160
	s_wait_loadcnt_dscnt 0x0
	v_mul_f64_e32 v[7:8], v[11:12], v[3:4]
	v_mul_f64_e32 v[3:4], v[9:10], v[3:4]
	s_delay_alu instid0(VALU_DEP_2) | instskip(NEXT) | instid1(VALU_DEP_2)
	v_fma_f64 v[7:8], v[9:10], v[1:2], v[7:8]
	v_fma_f64 v[3:4], v[1:2], v[11:12], -v[3:4]
	s_delay_alu instid0(VALU_DEP_2) | instskip(NEXT) | instid1(VALU_DEP_2)
	v_mul_f64_e32 v[1:2], s[0:1], v[7:8]
	v_mul_f64_e32 v[3:4], s[0:1], v[3:4]
	global_store_b128 v[13:14], v[1:4], off
	global_load_b128 v[1:4], v255, s[8:9] offset:2880
	ds_load_b128 v[5:8], v0 offset:2880
	ds_load_b128 v[9:12], v0 offset:3600
	s_wait_loadcnt_dscnt 0x1
	v_mul_f64_e32 v[15:16], v[7:8], v[3:4]
	v_mul_f64_e32 v[3:4], v[5:6], v[3:4]
	s_delay_alu instid0(VALU_DEP_2) | instskip(NEXT) | instid1(VALU_DEP_2)
	v_fma_f64 v[5:6], v[5:6], v[1:2], v[15:16]
	v_fma_f64 v[3:4], v[1:2], v[7:8], -v[3:4]
	s_delay_alu instid0(VALU_DEP_2) | instskip(NEXT) | instid1(VALU_DEP_2)
	v_mul_f64_e32 v[1:2], s[0:1], v[5:6]
	v_mul_f64_e32 v[3:4], s[0:1], v[3:4]
	v_add_co_u32 v5, vcc_lo, v13, s2
	s_wait_alu 0xfffd
	v_add_co_ci_u32_e32 v6, vcc_lo, s3, v14, vcc_lo
	s_delay_alu instid0(VALU_DEP_2) | instskip(SKIP_1) | instid1(VALU_DEP_2)
	v_add_co_u32 v13, vcc_lo, v5, s2
	s_wait_alu 0xfffd
	v_add_co_ci_u32_e32 v14, vcc_lo, s3, v6, vcc_lo
	global_store_b128 v[5:6], v[1:4], off
	global_load_b128 v[1:4], v255, s[8:9] offset:3600
	s_wait_loadcnt_dscnt 0x0
	v_mul_f64_e32 v[7:8], v[11:12], v[3:4]
	v_mul_f64_e32 v[3:4], v[9:10], v[3:4]
	s_delay_alu instid0(VALU_DEP_2) | instskip(NEXT) | instid1(VALU_DEP_2)
	v_fma_f64 v[7:8], v[9:10], v[1:2], v[7:8]
	v_fma_f64 v[3:4], v[1:2], v[11:12], -v[3:4]
	s_delay_alu instid0(VALU_DEP_2) | instskip(NEXT) | instid1(VALU_DEP_2)
	v_mul_f64_e32 v[1:2], s[0:1], v[7:8]
	v_mul_f64_e32 v[3:4], s[0:1], v[3:4]
	global_store_b128 v[13:14], v[1:4], off
	global_load_b128 v[1:4], v255, s[8:9] offset:4320
	ds_load_b128 v[5:8], v0 offset:4320
	ds_load_b128 v[9:12], v0 offset:5040
	s_wait_loadcnt_dscnt 0x1
	v_mul_f64_e32 v[15:16], v[7:8], v[3:4]
	v_mul_f64_e32 v[3:4], v[5:6], v[3:4]
	s_delay_alu instid0(VALU_DEP_2) | instskip(NEXT) | instid1(VALU_DEP_2)
	v_fma_f64 v[5:6], v[5:6], v[1:2], v[15:16]
	v_fma_f64 v[3:4], v[1:2], v[7:8], -v[3:4]
	s_delay_alu instid0(VALU_DEP_2) | instskip(NEXT) | instid1(VALU_DEP_2)
	v_mul_f64_e32 v[1:2], s[0:1], v[5:6]
	v_mul_f64_e32 v[3:4], s[0:1], v[3:4]
	v_add_co_u32 v5, vcc_lo, v13, s2
	s_wait_alu 0xfffd
	v_add_co_ci_u32_e32 v6, vcc_lo, s3, v14, vcc_lo
	s_delay_alu instid0(VALU_DEP_2) | instskip(SKIP_1) | instid1(VALU_DEP_2)
	v_add_co_u32 v13, vcc_lo, v5, s2
	s_wait_alu 0xfffd
	v_add_co_ci_u32_e32 v14, vcc_lo, s3, v6, vcc_lo
	global_store_b128 v[5:6], v[1:4], off
	global_load_b128 v[1:4], v255, s[8:9] offset:5040
	s_wait_loadcnt_dscnt 0x0
	v_mul_f64_e32 v[7:8], v[11:12], v[3:4]
	v_mul_f64_e32 v[3:4], v[9:10], v[3:4]
	s_delay_alu instid0(VALU_DEP_2) | instskip(NEXT) | instid1(VALU_DEP_2)
	v_fma_f64 v[7:8], v[9:10], v[1:2], v[7:8]
	v_fma_f64 v[3:4], v[1:2], v[11:12], -v[3:4]
	s_delay_alu instid0(VALU_DEP_2) | instskip(NEXT) | instid1(VALU_DEP_2)
	v_mul_f64_e32 v[1:2], s[0:1], v[7:8]
	v_mul_f64_e32 v[3:4], s[0:1], v[3:4]
	global_store_b128 v[13:14], v[1:4], off
	global_load_b128 v[1:4], v255, s[8:9] offset:5760
	ds_load_b128 v[5:8], v0 offset:5760
	ds_load_b128 v[9:12], v0 offset:6480
	s_wait_loadcnt_dscnt 0x1
	v_mul_f64_e32 v[15:16], v[7:8], v[3:4]
	v_mul_f64_e32 v[3:4], v[5:6], v[3:4]
	s_delay_alu instid0(VALU_DEP_2) | instskip(NEXT) | instid1(VALU_DEP_2)
	v_fma_f64 v[5:6], v[5:6], v[1:2], v[15:16]
	v_fma_f64 v[3:4], v[1:2], v[7:8], -v[3:4]
	s_delay_alu instid0(VALU_DEP_2) | instskip(NEXT) | instid1(VALU_DEP_2)
	v_mul_f64_e32 v[1:2], s[0:1], v[5:6]
	v_mul_f64_e32 v[3:4], s[0:1], v[3:4]
	v_add_co_u32 v5, vcc_lo, v13, s2
	s_wait_alu 0xfffd
	v_add_co_ci_u32_e32 v6, vcc_lo, s3, v14, vcc_lo
	s_delay_alu instid0(VALU_DEP_2) | instskip(SKIP_1) | instid1(VALU_DEP_2)
	v_add_co_u32 v13, vcc_lo, v5, s2
	s_wait_alu 0xfffd
	v_add_co_ci_u32_e32 v14, vcc_lo, s3, v6, vcc_lo
	global_store_b128 v[5:6], v[1:4], off
	global_load_b128 v[1:4], v255, s[8:9] offset:6480
	s_wait_loadcnt_dscnt 0x0
	v_mul_f64_e32 v[7:8], v[11:12], v[3:4]
	v_mul_f64_e32 v[3:4], v[9:10], v[3:4]
	s_delay_alu instid0(VALU_DEP_2) | instskip(NEXT) | instid1(VALU_DEP_2)
	v_fma_f64 v[7:8], v[9:10], v[1:2], v[7:8]
	v_fma_f64 v[3:4], v[1:2], v[11:12], -v[3:4]
	s_delay_alu instid0(VALU_DEP_2) | instskip(NEXT) | instid1(VALU_DEP_2)
	v_mul_f64_e32 v[1:2], s[0:1], v[7:8]
	v_mul_f64_e32 v[3:4], s[0:1], v[3:4]
	global_store_b128 v[13:14], v[1:4], off
	global_load_b128 v[1:4], v255, s[8:9] offset:7200
	ds_load_b128 v[5:8], v0 offset:7200
	ds_load_b128 v[9:12], v0 offset:7920
	s_wait_loadcnt_dscnt 0x1
	v_mul_f64_e32 v[15:16], v[7:8], v[3:4]
	v_mul_f64_e32 v[3:4], v[5:6], v[3:4]
	s_delay_alu instid0(VALU_DEP_2) | instskip(NEXT) | instid1(VALU_DEP_2)
	v_fma_f64 v[5:6], v[5:6], v[1:2], v[15:16]
	v_fma_f64 v[3:4], v[1:2], v[7:8], -v[3:4]
	s_delay_alu instid0(VALU_DEP_2) | instskip(NEXT) | instid1(VALU_DEP_2)
	v_mul_f64_e32 v[1:2], s[0:1], v[5:6]
	v_mul_f64_e32 v[3:4], s[0:1], v[3:4]
	v_add_co_u32 v5, vcc_lo, v13, s2
	s_wait_alu 0xfffd
	v_add_co_ci_u32_e32 v6, vcc_lo, s3, v14, vcc_lo
	s_delay_alu instid0(VALU_DEP_2) | instskip(SKIP_1) | instid1(VALU_DEP_2)
	v_add_co_u32 v13, vcc_lo, v5, s2
	s_wait_alu 0xfffd
	v_add_co_ci_u32_e32 v14, vcc_lo, s3, v6, vcc_lo
	global_store_b128 v[5:6], v[1:4], off
	global_load_b128 v[1:4], v255, s[8:9] offset:7920
	s_wait_loadcnt_dscnt 0x0
	v_mul_f64_e32 v[7:8], v[11:12], v[3:4]
	v_mul_f64_e32 v[3:4], v[9:10], v[3:4]
	s_delay_alu instid0(VALU_DEP_2) | instskip(NEXT) | instid1(VALU_DEP_2)
	v_fma_f64 v[7:8], v[9:10], v[1:2], v[7:8]
	v_fma_f64 v[3:4], v[1:2], v[11:12], -v[3:4]
	s_delay_alu instid0(VALU_DEP_2) | instskip(NEXT) | instid1(VALU_DEP_2)
	v_mul_f64_e32 v[1:2], s[0:1], v[7:8]
	v_mul_f64_e32 v[3:4], s[0:1], v[3:4]
	global_store_b128 v[13:14], v[1:4], off
	global_load_b128 v[1:4], v255, s[8:9] offset:8640
	ds_load_b128 v[5:8], v0 offset:8640
	ds_load_b128 v[9:12], v0 offset:9360
	s_wait_loadcnt_dscnt 0x1
	v_mul_f64_e32 v[15:16], v[7:8], v[3:4]
	v_mul_f64_e32 v[3:4], v[5:6], v[3:4]
	s_delay_alu instid0(VALU_DEP_2) | instskip(NEXT) | instid1(VALU_DEP_2)
	v_fma_f64 v[5:6], v[5:6], v[1:2], v[15:16]
	v_fma_f64 v[3:4], v[1:2], v[7:8], -v[3:4]
	s_delay_alu instid0(VALU_DEP_2) | instskip(NEXT) | instid1(VALU_DEP_2)
	v_mul_f64_e32 v[1:2], s[0:1], v[5:6]
	v_mul_f64_e32 v[3:4], s[0:1], v[3:4]
	v_add_co_u32 v5, vcc_lo, v13, s2
	s_wait_alu 0xfffd
	v_add_co_ci_u32_e32 v6, vcc_lo, s3, v14, vcc_lo
	s_delay_alu instid0(VALU_DEP_2) | instskip(SKIP_1) | instid1(VALU_DEP_2)
	v_add_co_u32 v13, vcc_lo, v5, s2
	s_wait_alu 0xfffd
	v_add_co_ci_u32_e32 v14, vcc_lo, s3, v6, vcc_lo
	global_store_b128 v[5:6], v[1:4], off
	global_load_b128 v[1:4], v255, s[8:9] offset:9360
	s_wait_loadcnt_dscnt 0x0
	v_mul_f64_e32 v[7:8], v[11:12], v[3:4]
	v_mul_f64_e32 v[3:4], v[9:10], v[3:4]
	s_delay_alu instid0(VALU_DEP_2) | instskip(NEXT) | instid1(VALU_DEP_2)
	v_fma_f64 v[7:8], v[9:10], v[1:2], v[7:8]
	v_fma_f64 v[3:4], v[1:2], v[11:12], -v[3:4]
	s_delay_alu instid0(VALU_DEP_2) | instskip(NEXT) | instid1(VALU_DEP_2)
	v_mul_f64_e32 v[1:2], s[0:1], v[7:8]
	v_mul_f64_e32 v[3:4], s[0:1], v[3:4]
	global_store_b128 v[13:14], v[1:4], off
	global_load_b128 v[1:4], v255, s[8:9] offset:10080
	ds_load_b128 v[5:8], v0 offset:10080
	ds_load_b128 v[9:12], v0 offset:10800
	s_wait_loadcnt_dscnt 0x1
	v_mul_f64_e32 v[15:16], v[7:8], v[3:4]
	v_mul_f64_e32 v[3:4], v[5:6], v[3:4]
	s_delay_alu instid0(VALU_DEP_2) | instskip(NEXT) | instid1(VALU_DEP_2)
	v_fma_f64 v[5:6], v[5:6], v[1:2], v[15:16]
	v_fma_f64 v[3:4], v[1:2], v[7:8], -v[3:4]
	s_delay_alu instid0(VALU_DEP_2) | instskip(NEXT) | instid1(VALU_DEP_2)
	v_mul_f64_e32 v[1:2], s[0:1], v[5:6]
	v_mul_f64_e32 v[3:4], s[0:1], v[3:4]
	v_add_co_u32 v5, vcc_lo, v13, s2
	s_wait_alu 0xfffd
	v_add_co_ci_u32_e32 v6, vcc_lo, s3, v14, vcc_lo
	global_store_b128 v[5:6], v[1:4], off
	global_load_b128 v[1:4], v255, s[8:9] offset:10800
	s_wait_loadcnt_dscnt 0x0
	v_mul_f64_e32 v[7:8], v[11:12], v[3:4]
	v_mul_f64_e32 v[3:4], v[9:10], v[3:4]
	s_delay_alu instid0(VALU_DEP_2) | instskip(NEXT) | instid1(VALU_DEP_2)
	v_fma_f64 v[7:8], v[9:10], v[1:2], v[7:8]
	v_fma_f64 v[3:4], v[1:2], v[11:12], -v[3:4]
	v_add_co_u32 v9, vcc_lo, v5, s2
	s_wait_alu 0xfffd
	v_add_co_ci_u32_e32 v10, vcc_lo, s3, v6, vcc_lo
	s_delay_alu instid0(VALU_DEP_4) | instskip(NEXT) | instid1(VALU_DEP_4)
	v_mul_f64_e32 v[1:2], s[0:1], v[7:8]
	v_mul_f64_e32 v[3:4], s[0:1], v[3:4]
	ds_load_b128 v[5:8], v0 offset:11520
	global_store_b128 v[9:10], v[1:4], off
	global_load_b128 v[1:4], v255, s[8:9] offset:11520
	s_wait_loadcnt_dscnt 0x0
	v_mul_f64_e32 v[11:12], v[7:8], v[3:4]
	v_mul_f64_e32 v[3:4], v[5:6], v[3:4]
	s_delay_alu instid0(VALU_DEP_2) | instskip(NEXT) | instid1(VALU_DEP_2)
	v_fma_f64 v[5:6], v[5:6], v[1:2], v[11:12]
	v_fma_f64 v[2:3], v[1:2], v[7:8], -v[3:4]
	v_add_co_u32 v4, vcc_lo, v9, s2
	s_delay_alu instid0(VALU_DEP_3) | instskip(NEXT) | instid1(VALU_DEP_3)
	v_mul_f64_e32 v[0:1], s[0:1], v[5:6]
	v_mul_f64_e32 v[2:3], s[0:1], v[2:3]
	s_wait_alu 0xfffd
	v_add_co_ci_u32_e32 v5, vcc_lo, s3, v10, vcc_lo
	global_store_b128 v[4:5], v[0:3], off
.LBB0_15:
	s_nop 0
	s_sendmsg sendmsg(MSG_DEALLOC_VGPRS)
	s_endpgm
	.section	.rodata,"a",@progbits
	.p2align	6, 0x0
	.amdhsa_kernel bluestein_single_back_len765_dim1_dp_op_CI_CI
		.amdhsa_group_segment_fixed_size 61200
		.amdhsa_private_segment_fixed_size 628
		.amdhsa_kernarg_size 104
		.amdhsa_user_sgpr_count 2
		.amdhsa_user_sgpr_dispatch_ptr 0
		.amdhsa_user_sgpr_queue_ptr 0
		.amdhsa_user_sgpr_kernarg_segment_ptr 1
		.amdhsa_user_sgpr_dispatch_id 0
		.amdhsa_user_sgpr_private_segment_size 0
		.amdhsa_wavefront_size32 1
		.amdhsa_uses_dynamic_stack 0
		.amdhsa_enable_private_segment 1
		.amdhsa_system_sgpr_workgroup_id_x 1
		.amdhsa_system_sgpr_workgroup_id_y 0
		.amdhsa_system_sgpr_workgroup_id_z 0
		.amdhsa_system_sgpr_workgroup_info 0
		.amdhsa_system_vgpr_workitem_id 0
		.amdhsa_next_free_vgpr 256
		.amdhsa_next_free_sgpr 58
		.amdhsa_reserve_vcc 1
		.amdhsa_float_round_mode_32 0
		.amdhsa_float_round_mode_16_64 0
		.amdhsa_float_denorm_mode_32 3
		.amdhsa_float_denorm_mode_16_64 3
		.amdhsa_fp16_overflow 0
		.amdhsa_workgroup_processor_mode 1
		.amdhsa_memory_ordered 1
		.amdhsa_forward_progress 0
		.amdhsa_round_robin_scheduling 0
		.amdhsa_exception_fp_ieee_invalid_op 0
		.amdhsa_exception_fp_denorm_src 0
		.amdhsa_exception_fp_ieee_div_zero 0
		.amdhsa_exception_fp_ieee_overflow 0
		.amdhsa_exception_fp_ieee_underflow 0
		.amdhsa_exception_fp_ieee_inexact 0
		.amdhsa_exception_int_div_zero 0
	.end_amdhsa_kernel
	.text
.Lfunc_end0:
	.size	bluestein_single_back_len765_dim1_dp_op_CI_CI, .Lfunc_end0-bluestein_single_back_len765_dim1_dp_op_CI_CI
                                        ; -- End function
	.section	.AMDGPU.csdata,"",@progbits
; Kernel info:
; codeLenInByte = 25060
; NumSgprs: 60
; NumVgprs: 256
; ScratchSize: 628
; MemoryBound: 0
; FloatMode: 240
; IeeeMode: 1
; LDSByteSize: 61200 bytes/workgroup (compile time only)
; SGPRBlocks: 7
; VGPRBlocks: 31
; NumSGPRsForWavesPerEU: 60
; NumVGPRsForWavesPerEU: 256
; Occupancy: 4
; WaveLimiterHint : 1
; COMPUTE_PGM_RSRC2:SCRATCH_EN: 1
; COMPUTE_PGM_RSRC2:USER_SGPR: 2
; COMPUTE_PGM_RSRC2:TRAP_HANDLER: 0
; COMPUTE_PGM_RSRC2:TGID_X_EN: 1
; COMPUTE_PGM_RSRC2:TGID_Y_EN: 0
; COMPUTE_PGM_RSRC2:TGID_Z_EN: 0
; COMPUTE_PGM_RSRC2:TIDIG_COMP_CNT: 0
	.text
	.p2alignl 7, 3214868480
	.fill 96, 4, 3214868480
	.type	__hip_cuid_d4042d66c1d2da85,@object ; @__hip_cuid_d4042d66c1d2da85
	.section	.bss,"aw",@nobits
	.globl	__hip_cuid_d4042d66c1d2da85
__hip_cuid_d4042d66c1d2da85:
	.byte	0                               ; 0x0
	.size	__hip_cuid_d4042d66c1d2da85, 1

	.ident	"AMD clang version 19.0.0git (https://github.com/RadeonOpenCompute/llvm-project roc-6.4.0 25133 c7fe45cf4b819c5991fe208aaa96edf142730f1d)"
	.section	".note.GNU-stack","",@progbits
	.addrsig
	.addrsig_sym __hip_cuid_d4042d66c1d2da85
	.amdgpu_metadata
---
amdhsa.kernels:
  - .args:
      - .actual_access:  read_only
        .address_space:  global
        .offset:         0
        .size:           8
        .value_kind:     global_buffer
      - .actual_access:  read_only
        .address_space:  global
        .offset:         8
        .size:           8
        .value_kind:     global_buffer
      - .actual_access:  read_only
        .address_space:  global
        .offset:         16
        .size:           8
        .value_kind:     global_buffer
      - .actual_access:  read_only
        .address_space:  global
        .offset:         24
        .size:           8
        .value_kind:     global_buffer
      - .actual_access:  read_only
        .address_space:  global
        .offset:         32
        .size:           8
        .value_kind:     global_buffer
      - .offset:         40
        .size:           8
        .value_kind:     by_value
      - .address_space:  global
        .offset:         48
        .size:           8
        .value_kind:     global_buffer
      - .address_space:  global
        .offset:         56
        .size:           8
        .value_kind:     global_buffer
      - .address_space:  global
        .offset:         64
        .size:           8
        .value_kind:     global_buffer
      - .address_space:  global
        .offset:         72
        .size:           8
        .value_kind:     global_buffer
      - .offset:         80
        .size:           4
        .value_kind:     by_value
      - .address_space:  global
        .offset:         88
        .size:           8
        .value_kind:     global_buffer
      - .address_space:  global
        .offset:         96
        .size:           8
        .value_kind:     global_buffer
    .group_segment_fixed_size: 61200
    .kernarg_segment_align: 8
    .kernarg_segment_size: 104
    .language:       OpenCL C
    .language_version:
      - 2
      - 0
    .max_flat_workgroup_size: 255
    .name:           bluestein_single_back_len765_dim1_dp_op_CI_CI
    .private_segment_fixed_size: 628
    .sgpr_count:     60
    .sgpr_spill_count: 0
    .symbol:         bluestein_single_back_len765_dim1_dp_op_CI_CI.kd
    .uniform_work_group_size: 1
    .uses_dynamic_stack: false
    .vgpr_count:     256
    .vgpr_spill_count: 158
    .wavefront_size: 32
    .workgroup_processor_mode: 1
amdhsa.target:   amdgcn-amd-amdhsa--gfx1201
amdhsa.version:
  - 1
  - 2
...

	.end_amdgpu_metadata
